;; amdgpu-corpus repo=ROCm/rocFFT kind=compiled arch=gfx1201 opt=O3
	.text
	.amdgcn_target "amdgcn-amd-amdhsa--gfx1201"
	.amdhsa_code_object_version 6
	.protected	bluestein_single_back_len1575_dim1_sp_op_CI_CI ; -- Begin function bluestein_single_back_len1575_dim1_sp_op_CI_CI
	.globl	bluestein_single_back_len1575_dim1_sp_op_CI_CI
	.p2align	8
	.type	bluestein_single_back_len1575_dim1_sp_op_CI_CI,@function
bluestein_single_back_len1575_dim1_sp_op_CI_CI: ; @bluestein_single_back_len1575_dim1_sp_op_CI_CI
; %bb.0:
	s_load_b128 s[8:11], s[0:1], 0x28
	v_mul_u32_u24_e32 v1, 0x411, v0
	s_mov_b32 s2, exec_lo
	v_mov_b32_e32 v253, 0
	s_delay_alu instid0(VALU_DEP_2) | instskip(NEXT) | instid1(VALU_DEP_1)
	v_lshrrev_b32_e32 v1, 16, v1
	v_add_nc_u32_e32 v252, ttmp9, v1
	s_wait_kmcnt 0x0
	s_delay_alu instid0(VALU_DEP_1)
	v_cmpx_gt_u64_e64 s[8:9], v[252:253]
	s_cbranch_execz .LBB0_31
; %bb.1:
	s_clause 0x1
	s_load_b128 s[4:7], s[0:1], 0x18
	s_load_b64 s[16:17], s[0:1], 0x0
	v_mul_lo_u16 v1, v1, 63
	s_movk_i32 s2, 0xfc25
	s_mov_b32 s3, -1
	s_delay_alu instid0(VALU_DEP_1)
	v_sub_nc_u16 v2, v0, v1
	s_wait_kmcnt 0x0
	s_load_b128 s[12:15], s[4:5], 0x0
	s_wait_kmcnt 0x0
	v_mad_co_u64_u32 v[0:1], null, s14, v252, 0
	s_mul_u64 s[4:5], s[12:13], 0x20d
	s_mul_u64 s[2:3], s[12:13], s[2:3]
	s_delay_alu instid0(SALU_CYCLE_1) | instskip(NEXT) | instid1(VALU_DEP_1)
	s_lshl_b64 s[2:3], s[2:3], 3
	v_mad_co_u64_u32 v[5:6], null, s15, v252, v[1:2]
	s_delay_alu instid0(VALU_DEP_1) | instskip(NEXT) | instid1(VALU_DEP_1)
	v_dual_mov_b32 v1, v5 :: v_dual_and_b32 v246, 0xffff, v2
	v_mad_co_u64_u32 v[3:4], null, s12, v246, 0
	s_delay_alu instid0(VALU_DEP_2) | instskip(NEXT) | instid1(VALU_DEP_2)
	v_lshlrev_b64_e32 v[0:1], 3, v[0:1]
	v_mad_co_u64_u32 v[6:7], null, s13, v246, v[4:5]
	v_lshlrev_b32_e32 v255, 3, v246
	s_delay_alu instid0(VALU_DEP_3) | instskip(NEXT) | instid1(VALU_DEP_4)
	v_add_co_u32 v0, vcc_lo, s10, v0
	v_add_co_ci_u32_e32 v1, vcc_lo, s11, v1, vcc_lo
	s_lshl_b64 s[10:11], s[4:5], 3
	s_delay_alu instid0(VALU_DEP_4)
	v_mov_b32_e32 v4, v6
	s_clause 0xe
	global_load_b64 v[214:215], v255, s[16:17]
	global_load_b64 v[95:96], v255, s[16:17] offset:504
	global_load_b64 v[93:94], v255, s[16:17] offset:1008
	;; [unrolled: 1-line block ×14, first 2 shown]
	v_lshlrev_b64_e32 v[3:4], 3, v[3:4]
	s_clause 0x6
	global_load_b64 v[83:84], v255, s[16:17] offset:10416
	global_load_b64 v[73:74], v255, s[16:17] offset:10920
	;; [unrolled: 1-line block ×7, first 2 shown]
	v_add_co_u32 v0, vcc_lo, v0, v3
	s_wait_alu 0xfffd
	v_add_co_ci_u32_e32 v1, vcc_lo, v1, v4, vcc_lo
	s_wait_alu 0xfffe
	s_delay_alu instid0(VALU_DEP_2) | instskip(SKIP_1) | instid1(VALU_DEP_2)
	v_add_co_u32 v3, vcc_lo, v0, s10
	s_wait_alu 0xfffd
	v_add_co_ci_u32_e32 v4, vcc_lo, s11, v1, vcc_lo
	s_delay_alu instid0(VALU_DEP_2) | instskip(SKIP_1) | instid1(VALU_DEP_2)
	v_add_co_u32 v5, vcc_lo, v3, s10
	s_wait_alu 0xfffd
	v_add_co_ci_u32_e32 v6, vcc_lo, s11, v4, vcc_lo
	;; [unrolled: 4-line block ×4, first 2 shown]
	s_clause 0x3
	global_load_b64 v[11:12], v[0:1], off
	global_load_b64 v[13:14], v[3:4], off
	;; [unrolled: 1-line block ×4, first 2 shown]
	v_add_co_u32 v0, vcc_lo, v9, s10
	s_wait_alu 0xfffd
	v_add_co_ci_u32_e32 v1, vcc_lo, s11, v10, vcc_lo
	global_load_b64 v[9:10], v[9:10], off
	v_add_co_u32 v3, vcc_lo, v0, s2
	s_wait_alu 0xfffd
	v_add_co_ci_u32_e32 v4, vcc_lo, s3, v1, vcc_lo
	global_load_b64 v[21:22], v[0:1], off
	;; [unrolled: 4-line block ×18, first 2 shown]
	v_add_co_u32 v0, vcc_lo, v3, s10
	s_wait_alu 0xfffd
	v_add_co_ci_u32_e32 v1, vcc_lo, s11, v4, vcc_lo
	global_load_b64 v[77:78], v255, s[16:17] offset:7728
	global_load_b64 v[55:56], v[3:4], off
	global_load_b64 v[81:82], v255, s[16:17] offset:11928
	global_load_b64 v[57:58], v[0:1], off
	v_add_nc_u32_e32 v6, 0x1000, v255
	v_add_nc_u32_e32 v5, 0x2000, v255
	v_add_nc_u32_e32 v15, 0x1400, v255
	v_add_co_u32 v3, s12, s16, v255
	s_wait_alu 0xf1ff
	v_add_co_ci_u32_e64 v4, null, s17, 0, s12
	v_add_nc_u32_e32 v19, 0x2400, v255
	s_load_b64 s[8:9], s[0:1], 0x38
	s_load_b128 s[4:7], s[6:7], 0x0
	v_cmp_gt_u16_e32 vcc_lo, 21, v2
	scratch_store_b64 off, v[3:4], off      ; 8-byte Folded Spill
	v_add_nc_u32_e32 v3, 0x800, v255
	s_wait_loadcnt 0x2e
	scratch_store_b64 off, v[95:96], off offset:128 ; 8-byte Folded Spill
	s_wait_loadcnt 0x19
	v_mul_f32_e32 v60, v11, v215
	v_mul_f32_e32 v59, v12, v215
	s_wait_loadcnt 0x16
	v_dual_mul_f32 v61, v14, v217 :: v_dual_mul_f32 v64, v7, v96
	v_add_nc_u32_e32 v16, 0x1800, v255
	v_fma_f32 v60, v12, v214, -v60
	v_mul_f32_e32 v12, v13, v217
	s_delay_alu instid0(VALU_DEP_4) | instskip(SKIP_2) | instid1(VALU_DEP_4)
	v_fmac_f32_e32 v61, v13, v216
	v_mul_f32_e32 v13, v8, v96
	v_mul_f32_e32 v63, v17, v219
	v_fma_f32 v62, v14, v216, -v12
	v_fma_f32 v14, v8, v95, -v64
	s_wait_loadcnt 0x15
	v_dual_mul_f32 v8, v9, v102 :: v_dual_fmac_f32 v13, v7, v95
	v_mul_f32_e32 v7, v10, v102
	v_fma_f32 v12, v18, v218, -v63
	s_delay_alu instid0(VALU_DEP_3)
	v_fma_f32 v8, v10, v101, -v8
	s_wait_loadcnt 0x14
	v_mul_f32_e32 v10, v21, v254
	v_dual_fmac_f32 v59, v11, v214 :: v_dual_add_nc_u32 v4, 0x400, v255
	v_mul_f32_e32 v11, v18, v219
	v_fmac_f32_e32 v7, v9, v101
	s_wait_loadcnt 0x11
	v_dual_mul_f32 v9, v24, v94 :: v_dual_mul_f32 v18, v27, v100
	s_delay_alu instid0(VALU_DEP_3)
	v_dual_fmac_f32 v11, v17, v218 :: v_dual_add_nc_u32 v20, 0x2800, v255
	ds_store_b64 v255, v[61:62] offset:4200
	ds_store_b64 v255, v[11:12] offset:8400
	v_mul_f32_e32 v11, v22, v254
	v_mul_f32_e32 v17, v25, v98
	v_fma_f32 v12, v22, v253, -v10
	s_wait_loadcnt 0x10
	v_mul_f32_e32 v22, v29, v88
	ds_store_2addr_b64 v255, v[59:60], v[13:14] offset1:63
	v_mul_f32_e32 v14, v23, v94
	v_mul_f32_e32 v13, v26, v98
	v_fmac_f32_e32 v9, v23, v93
	v_fma_f32 v18, v28, v99, -v18
	v_fma_f32 v22, v30, v87, -v22
	;; [unrolled: 1-line block ×3, first 2 shown]
	v_fmac_f32_e32 v13, v25, v97
	v_fma_f32 v14, v26, v97, -v17
	v_mul_f32_e32 v17, v28, v100
	s_clause 0x2
	scratch_store_b64 off, v[101:102], off offset:152
	scratch_store_b64 off, v[99:100], off offset:144
	;; [unrolled: 1-line block ×3, first 2 shown]
	ds_store_2addr_b64 v6, v[7:8], v[13:14] offset0:76 offset1:139
	s_wait_loadcnt 0xd
	v_mul_f32_e32 v14, v35, v213
	v_fmac_f32_e32 v11, v21, v253
	v_mul_f32_e32 v21, v30, v88
	v_fmac_f32_e32 v17, v27, v99
	v_mul_f32_e32 v7, v32, v90
	s_wait_loadcnt 0xc
	v_dual_mul_f32 v8, v31, v90 :: v_dual_mul_f32 v13, v38, v80
	v_fmac_f32_e32 v21, v29, v87
	ds_store_2addr_b64 v5, v[11:12], v[17:18] offset0:89 offset1:152
	v_mul_f32_e32 v17, v37, v80
	v_fmac_f32_e32 v7, v31, v89
	v_fma_f32 v8, v32, v89, -v8
	ds_store_2addr_b64 v255, v[9:10], v[21:22] offset0:126 offset1:189
	v_dual_mul_f32 v10, v33, v92 :: v_dual_mul_f32 v9, v36, v213
	v_fmac_f32_e32 v13, v37, v79
	s_wait_loadcnt 0xa
	v_mul_f32_e32 v21, v42, v86
	v_mul_f32_e32 v22, v41, v86
	v_fma_f32 v12, v34, v91, -v10
	v_fma_f32 v10, v36, v212, -v14
	;; [unrolled: 1-line block ×3, first 2 shown]
	v_mul_f32_e32 v11, v34, v92
	v_mul_f32_e32 v17, v40, v84
	;; [unrolled: 1-line block ×3, first 2 shown]
	v_fmac_f32_e32 v9, v35, v212
	ds_store_2addr_b64 v15, v[7:8], v[13:14] offset0:74 offset1:137
	v_fmac_f32_e32 v21, v41, v85
	v_fma_f32 v22, v42, v85, -v22
	s_wait_loadcnt 0x9
	v_mul_f32_e32 v7, v44, v66
	s_wait_loadcnt 0x6
	v_dual_mul_f32 v8, v43, v66 :: v_dual_mul_f32 v13, v50, v68
	v_mul_f32_e32 v14, v49, v68
	v_fmac_f32_e32 v11, v33, v91
	v_fmac_f32_e32 v17, v39, v83
	v_fma_f32 v18, v40, v83, -v18
	ds_store_2addr_b64 v4, v[9:10], v[21:22] offset0:124 offset1:187
	v_fmac_f32_e32 v7, v43, v65
	v_fma_f32 v8, v44, v65, -v8
	v_mul_f32_e32 v10, v45, v74
	v_fmac_f32_e32 v13, v49, v67
	v_fma_f32 v14, v50, v67, -v14
	s_wait_loadcnt 0x5
	v_mul_f32_e32 v15, v51, v72
	ds_store_2addr_b64 v19, v[11:12], v[17:18] offset0:87 offset1:150
	v_mul_f32_e32 v11, v46, v74
	v_mul_f32_e32 v17, v52, v72
	;; [unrolled: 1-line block ×3, first 2 shown]
	v_fma_f32 v12, v46, v73, -v10
	s_wait_loadcnt 0x4
	v_dual_mul_f32 v10, v47, v76 :: v_dual_mul_f32 v21, v54, v70
	ds_store_2addr_b64 v16, v[7:8], v[13:14] offset0:72 offset1:135
	v_mul_f32_e32 v8, v53, v70
	s_wait_loadcnt 0x2
	v_mul_f32_e32 v7, v56, v78
	v_mul_f32_e32 v14, v55, v78
	v_fma_f32 v18, v52, v71, -v15
	s_wait_loadcnt 0x0
	v_mul_f32_e32 v13, v58, v82
	v_mul_f32_e32 v15, v57, v82
	v_fmac_f32_e32 v11, v45, v73
	v_fmac_f32_e32 v17, v51, v71
	;; [unrolled: 1-line block ×3, first 2 shown]
	v_fma_f32 v10, v48, v75, -v10
	v_fmac_f32_e32 v21, v53, v69
	v_fma_f32 v22, v54, v69, -v8
	v_fmac_f32_e32 v7, v55, v77
	;; [unrolled: 2-line block ×3, first 2 shown]
	v_fma_f32 v14, v58, v81, -v15
	s_clause 0xe
	scratch_store_b64 off, v[89:90], off offset:104
	scratch_store_b64 off, v[91:92], off offset:112
	;; [unrolled: 1-line block ×15, first 2 shown]
	ds_store_2addr_b64 v20, v[11:12], v[17:18] offset0:85 offset1:148
	ds_store_2addr_b64 v3, v[9:10], v[21:22] offset0:122 offset1:185
	ds_store_b64 v255, v[7:8] offset:7728
	ds_store_b64 v255, v[13:14] offset:11928
	s_and_saveexec_b32 s12, vcc_lo
	s_cbranch_execz .LBB0_3
; %bb.2:
	scratch_load_b64 v[17:18], off, off     ; 8-byte Folded Reload
	v_add_co_u32 v0, s2, v0, s2
	s_wait_alu 0xf1ff
	v_add_co_ci_u32_e64 v1, s2, s3, v1, s2
	global_load_b64 v[7:8], v[0:1], off
	v_add_co_u32 v0, s2, v0, s10
	s_wait_alu 0xf1ff
	v_add_co_ci_u32_e64 v1, s2, s11, v1, s2
	s_delay_alu instid0(VALU_DEP_2) | instskip(SKIP_1) | instid1(VALU_DEP_2)
	v_add_co_u32 v11, s2, v0, s10
	s_wait_alu 0xf1ff
	v_add_co_ci_u32_e64 v12, s2, s11, v1, s2
	s_wait_loadcnt 0x1
	global_load_b64 v[9:10], v[17:18], off offset:4032
	global_load_b64 v[0:1], v[0:1], off
	s_clause 0x1
	global_load_b64 v[13:14], v[17:18], off offset:8232
	global_load_b64 v[17:18], v[17:18], off offset:12432
	global_load_b64 v[11:12], v[11:12], off
	s_wait_loadcnt 0x4
	v_mul_f32_e32 v21, v8, v10
	v_mul_f32_e32 v2, v7, v10
	s_wait_loadcnt 0x0
	v_mul_f32_e32 v10, v12, v18
	v_mul_f32_e32 v15, v11, v18
	s_delay_alu instid0(VALU_DEP_2) | instskip(SKIP_4) | instid1(VALU_DEP_3)
	v_fmac_f32_e32 v10, v11, v17
	v_fmac_f32_e32 v21, v7, v9
	v_mul_f32_e32 v7, v1, v14
	v_mul_f32_e32 v14, v0, v14
	v_fma_f32 v11, v12, v17, -v15
	v_fmac_f32_e32 v7, v0, v13
	v_fma_f32 v22, v8, v9, -v2
	s_delay_alu instid0(VALU_DEP_4)
	v_fma_f32 v8, v1, v13, -v14
	ds_store_b64 v255, v[21:22] offset:4032
	ds_store_b64 v255, v[7:8] offset:8232
	;; [unrolled: 1-line block ×3, first 2 shown]
.LBB0_3:
	s_wait_alu 0xfffe
	s_or_b32 exec_lo, exec_lo, s12
	global_wb scope:SCOPE_SE
	s_wait_storecnt_dscnt 0x0
	s_wait_kmcnt 0x0
	s_barrier_signal -1
	s_barrier_wait -1
	global_inv scope:SCOPE_SE
	ds_load_2addr_b64 v[12:15], v255 offset1:63
	ds_load_2addr_b64 v[40:43], v6 offset0:13 offset1:76
	ds_load_2addr_b64 v[44:47], v5 offset0:26 offset1:89
	;; [unrolled: 1-line block ×11, first 2 shown]
                                        ; implicit-def: $vgpr84
                                        ; implicit-def: $vgpr48
                                        ; implicit-def: $vgpr50
	s_and_saveexec_b32 s2, vcc_lo
	s_cbranch_execz .LBB0_5
; %bb.4:
	ds_load_b64 v[84:85], v255 offset:4032
	ds_load_b64 v[50:51], v255 offset:8232
	;; [unrolled: 1-line block ×3, first 2 shown]
.LBB0_5:
	s_wait_alu 0xfffe
	s_or_b32 exec_lo, exec_lo, s2
	s_load_b64 s[2:3], s[0:1], 0x8
	v_add_co_u32 v159, s0, v246, 63
	s_wait_alu 0xf1ff
	v_add_co_ci_u32_e64 v52, null, 0, 0, s0
	v_add_co_u32 v158, s0, 0x7e, v246
	s_wait_alu 0xf1ff
	v_add_co_ci_u32_e64 v52, null, 0, 0, s0
	;; [unrolled: 3-line block ×6, first 2 shown]
	s_wait_dscnt 0x9
	v_dual_add_f32 v52, v40, v44 :: v_dual_sub_f32 v55, v41, v45
	v_dual_add_f32 v53, v12, v40 :: v_dual_add_f32 v54, v41, v45
	v_add_f32_e32 v41, v13, v41
	s_delay_alu instid0(VALU_DEP_3) | instskip(SKIP_1) | instid1(VALU_DEP_4)
	v_fma_f32 v12, -0.5, v52, v12
	v_add_co_u32 v157, null, 0xbd, v246
	v_add_f32_e32 v52, v53, v44
	v_sub_f32_e32 v44, v40, v44
	s_delay_alu instid0(VALU_DEP_4) | instskip(SKIP_4) | instid1(VALU_DEP_4)
	v_dual_fmamk_f32 v40, v55, 0x3f5db3d7, v12 :: v_dual_add_f32 v53, v41, v45
	v_add_f32_e32 v45, v42, v46
	v_fma_f32 v13, -0.5, v54, v13
	v_fmac_f32_e32 v12, 0xbf5db3d7, v55
	v_dual_add_f32 v54, v14, v42 :: v_dual_add_f32 v55, v43, v47
	v_fma_f32 v14, -0.5, v45, v14
	v_sub_f32_e32 v45, v43, v47
	v_add_f32_e32 v43, v15, v43
	v_fmamk_f32 v41, v44, 0xbf5db3d7, v13
	v_dual_fmac_f32 v13, 0x3f5db3d7, v44 :: v_dual_add_f32 v44, v54, v46
	v_sub_f32_e32 v46, v42, v46
	v_dual_fmamk_f32 v42, v45, 0x3f5db3d7, v14 :: v_dual_fmac_f32 v15, -0.5, v55
	v_dual_fmac_f32 v14, 0xbf5db3d7, v45 :: v_dual_add_f32 v45, v43, v47
	s_wait_dscnt 0x7
	v_add_f32_e32 v54, v8, v32
	s_wait_dscnt 0x6
	v_add_f32_e32 v47, v32, v36
	v_fmamk_f32 v43, v46, 0xbf5db3d7, v15
	v_fmac_f32_e32 v15, 0x3f5db3d7, v46
	global_wb scope:SCOPE_SE
	s_wait_dscnt 0x0
	v_add_f32_e32 v46, v54, v36
	v_add_f32_e32 v54, v10, v34
	v_fma_f32 v8, -0.5, v47, v8
	v_sub_f32_e32 v47, v33, v37
	v_add_f32_e32 v55, v33, v37
	v_dual_add_f32 v33, v9, v33 :: v_dual_sub_f32 v36, v32, v36
	s_wait_kmcnt 0x0
	s_barrier_signal -1
	v_fmamk_f32 v32, v47, 0x3f5db3d7, v8
	v_fmac_f32_e32 v8, 0xbf5db3d7, v47
	v_fma_f32 v9, -0.5, v55, v9
	v_add_f32_e32 v47, v33, v37
	v_add_f32_e32 v37, v34, v38
	s_barrier_wait -1
	global_inv scope:SCOPE_SE
	v_fmamk_f32 v33, v36, 0xbf5db3d7, v9
	v_dual_fmac_f32 v9, 0x3f5db3d7, v36 :: v_dual_add_f32 v36, v54, v38
	v_dual_add_f32 v54, v4, v24 :: v_dual_add_f32 v55, v35, v39
	v_fma_f32 v10, -0.5, v37, v10
	v_sub_f32_e32 v37, v35, v39
	v_dual_add_f32 v35, v11, v35 :: v_dual_sub_f32 v38, v34, v38
	v_add_f32_e32 v56, v19, v23
	v_add_co_u32 v95, null, 0x1f8, v246
	s_delay_alu instid0(VALU_DEP_4) | instskip(NEXT) | instid1(VALU_DEP_4)
	v_fmamk_f32 v34, v37, 0x3f5db3d7, v10
	v_dual_fmac_f32 v10, 0xbf5db3d7, v37 :: v_dual_add_f32 v37, v35, v39
	v_add_f32_e32 v39, v24, v28
	s_delay_alu instid0(VALU_DEP_1) | instskip(SKIP_4) | instid1(VALU_DEP_3)
	v_fma_f32 v4, -0.5, v39, v4
	v_sub_f32_e32 v39, v25, v29
	v_fmac_f32_e32 v11, -0.5, v55
	v_add_f32_e32 v55, v25, v29
	v_add_f32_e32 v25, v5, v25
	v_fmamk_f32 v35, v38, 0xbf5db3d7, v11
	v_dual_fmac_f32 v11, 0x3f5db3d7, v38 :: v_dual_add_f32 v38, v54, v28
	v_sub_f32_e32 v28, v24, v28
	v_fmamk_f32 v24, v39, 0x3f5db3d7, v4
	v_dual_fmac_f32 v4, 0xbf5db3d7, v39 :: v_dual_add_f32 v39, v25, v29
	v_add_f32_e32 v29, v26, v30
	v_fma_f32 v5, -0.5, v55, v5
	v_dual_add_f32 v54, v6, v26 :: v_dual_add_f32 v55, v27, v31
	s_delay_alu instid0(VALU_DEP_3)
	v_fma_f32 v6, -0.5, v29, v6
	v_sub_f32_e32 v29, v27, v31
	v_add_f32_e32 v27, v7, v27
	v_fmamk_f32 v25, v28, 0xbf5db3d7, v5
	v_dual_fmac_f32 v5, 0x3f5db3d7, v28 :: v_dual_add_f32 v28, v54, v30
	v_sub_f32_e32 v30, v26, v30
	v_fmamk_f32 v26, v29, 0x3f5db3d7, v6
	v_dual_fmac_f32 v6, 0xbf5db3d7, v29 :: v_dual_add_f32 v29, v27, v31
	v_add_f32_e32 v31, v16, v20
	v_dual_fmac_f32 v7, -0.5, v55 :: v_dual_add_f32 v54, v0, v16
	v_add_f32_e32 v55, v17, v21
	s_delay_alu instid0(VALU_DEP_3) | instskip(SKIP_2) | instid1(VALU_DEP_4)
	v_fma_f32 v0, -0.5, v31, v0
	v_sub_f32_e32 v31, v17, v21
	v_add_f32_e32 v17, v1, v17
	v_fma_f32 v1, -0.5, v55, v1
	v_sub_f32_e32 v55, v19, v23
	v_fmamk_f32 v27, v30, 0xbf5db3d7, v7
	v_dual_fmac_f32 v7, 0x3f5db3d7, v30 :: v_dual_add_f32 v30, v54, v20
	v_sub_f32_e32 v20, v16, v20
	v_fmamk_f32 v16, v31, 0x3f5db3d7, v0
	v_add_f32_e32 v54, v18, v22
	v_dual_fmac_f32 v0, 0xbf5db3d7, v31 :: v_dual_add_f32 v31, v17, v21
	v_add_f32_e32 v21, v2, v18
	v_add_f32_e32 v19, v3, v19
	v_fmamk_f32 v17, v20, 0xbf5db3d7, v1
	v_fma_f32 v2, -0.5, v54, v2
	s_delay_alu instid0(VALU_DEP_4)
	v_dual_fmac_f32 v1, 0x3f5db3d7, v20 :: v_dual_add_f32 v20, v21, v22
	v_dual_fmac_f32 v3, -0.5, v56 :: v_dual_sub_f32 v18, v18, v22
	v_add_f32_e32 v21, v19, v23
	v_add_f32_e32 v19, v84, v50
	;; [unrolled: 1-line block ×3, first 2 shown]
	v_fmamk_f32 v54, v55, 0x3f5db3d7, v2
	v_dual_fmac_f32 v2, 0xbf5db3d7, v55 :: v_dual_fmamk_f32 v55, v18, 0xbf5db3d7, v3
	v_dual_fmac_f32 v3, 0x3f5db3d7, v18 :: v_dual_add_f32 v18, v49, v51
	v_add_f32_e32 v86, v48, v19
	v_dual_fmac_f32 v84, -0.5, v22 :: v_dual_sub_f32 v19, v51, v49
	v_mul_lo_u16 v23, v246, 3
	s_delay_alu instid0(VALU_DEP_4) | instskip(SKIP_1) | instid1(VALU_DEP_4)
	v_dual_add_f32 v22, v85, v51 :: v_dual_fmac_f32 v85, -0.5, v18
	v_sub_f32_e32 v18, v50, v48
	v_fmamk_f32 v88, v19, 0x3f5db3d7, v84
	v_fmac_f32_e32 v84, 0xbf5db3d7, v19
	v_and_b32_e32 v19, 0xffff, v23
	v_add_f32_e32 v87, v49, v22
	v_fmamk_f32 v89, v18, 0xbf5db3d7, v85
	v_fmac_f32_e32 v85, 0x3f5db3d7, v18
	v_mul_u32_u24_e32 v18, 3, v159
	v_lshlrev_b32_e32 v23, 3, v19
	v_mul_u32_u24_e32 v19, 3, v158
	s_delay_alu instid0(VALU_DEP_3)
	v_lshlrev_b32_e32 v22, 3, v18
	ds_store_2addr_b64 v23, v[52:53], v[40:41] offset1:1
	ds_store_b64 v23, v[12:13] offset:16
	v_mul_u32_u24_e32 v12, 3, v157
	v_lshlrev_b32_e32 v18, 3, v19
	v_mul_u32_u24_e32 v13, 3, v156
	ds_store_2addr_b64 v22, v[44:45], v[42:43] offset1:1
	ds_store_b64 v22, v[14:15] offset:16
	v_lshlrev_b32_e32 v14, 3, v12
	ds_store_2addr_b64 v18, v[46:47], v[32:33] offset1:1
	ds_store_b64 v18, v[8:9] offset:16
	v_lshlrev_b32_e32 v12, 3, v13
	v_mul_u32_u24_e32 v8, 3, v94
	ds_store_2addr_b64 v14, v[36:37], v[34:35] offset1:1
	ds_store_b64 v14, v[10:11] offset:16
	v_mul_u32_u24_e32 v9, 3, v93
	v_mul_u32_u24_e32 v10, 3, v92
	v_lshlrev_b32_e32 v11, 3, v8
	ds_store_2addr_b64 v12, v[38:39], v[24:25] offset1:1
	ds_store_b64 v12, v[4:5] offset:16
	v_lshlrev_b32_e32 v8, 3, v9
	v_lshlrev_b32_e32 v4, 3, v10
	v_mul_u32_u24_e32 v5, 3, v95
	s_clause 0x6
	scratch_store_b32 off, v12, off offset:184
	scratch_store_b32 off, v23, off offset:216
	;; [unrolled: 1-line block ×7, first 2 shown]
	ds_store_2addr_b64 v11, v[28:29], v[26:27] offset1:1
	ds_store_b64 v11, v[6:7] offset:16
	scratch_store_b32 off, v5, off offset:252 ; 4-byte Folded Spill
	ds_store_2addr_b64 v8, v[30:31], v[16:17] offset1:1
	ds_store_b64 v8, v[0:1] offset:16
	ds_store_2addr_b64 v4, v[20:21], v[54:55] offset1:1
	scratch_store_b32 off, v4, off offset:188 ; 4-byte Folded Spill
	ds_store_b64 v4, v[2:3] offset:16
	s_and_saveexec_b32 s0, vcc_lo
	s_cbranch_execz .LBB0_7
; %bb.6:
	v_mul_u32_u24_e32 v0, 3, v95
	s_delay_alu instid0(VALU_DEP_1)
	v_lshlrev_b32_e32 v0, 3, v0
	ds_store_2addr_b64 v0, v[86:87], v[88:89] offset1:1
	ds_store_b64 v0, v[84:85] offset:16
.LBB0_7:
	s_wait_alu 0xfffe
	s_or_b32 exec_lo, exec_lo, s0
	v_add_nc_u32_e32 v0, 0x1000, v255
	v_add_nc_u32_e32 v1, 0x2000, v255
	global_wb scope:SCOPE_SE
	s_wait_storecnt_dscnt 0x0
	s_barrier_signal -1
	s_barrier_wait -1
	global_inv scope:SCOPE_SE
	ds_load_2addr_b64 v[32:35], v255 offset1:63
	ds_load_2addr_b64 v[76:79], v0 offset0:13 offset1:76
	ds_load_2addr_b64 v[72:75], v1 offset0:26 offset1:89
	;; [unrolled: 1-line block ×4, first 2 shown]
	v_add_nc_u32_e32 v0, 0x400, v255
	v_add_nc_u32_e32 v2, 0x1800, v255
	v_add_nc_u32_e32 v3, 0x2800, v255
	v_add_nc_u32_e32 v4, 0x800, v255
	ds_load_2addr_b64 v[80:83], v1 offset0:152 offset1:215
	ds_load_2addr_b64 v[48:51], v0 offset0:124 offset1:187
	;; [unrolled: 1-line block ×7, first 2 shown]
	s_and_saveexec_b32 s0, vcc_lo
	s_cbranch_execz .LBB0_9
; %bb.8:
	ds_load_b64 v[86:87], v255 offset:4032
	ds_load_b64 v[88:89], v255 offset:8232
	;; [unrolled: 1-line block ×3, first 2 shown]
.LBB0_9:
	s_wait_alu 0xfffe
	s_or_b32 exec_lo, exec_lo, s0
	v_and_b32_e32 v91, 0xff, v246
	v_and_b32_e32 v96, 0xff, v159
	;; [unrolled: 1-line block ×3, first 2 shown]
	s_delay_alu instid0(VALU_DEP_3) | instskip(NEXT) | instid1(VALU_DEP_3)
	v_mul_lo_u16 v0, 0xab, v91
	v_mul_lo_u16 v3, 0xab, v96
	s_delay_alu instid0(VALU_DEP_3) | instskip(NEXT) | instid1(VALU_DEP_3)
	v_mul_lo_u16 v5, 0xab, v161
	v_lshrrev_b16 v97, 9, v0
	s_delay_alu instid0(VALU_DEP_3) | instskip(NEXT) | instid1(VALU_DEP_3)
	v_lshrrev_b16 v98, 9, v3
	v_lshrrev_b16 v99, 9, v5
	s_delay_alu instid0(VALU_DEP_3) | instskip(NEXT) | instid1(VALU_DEP_3)
	v_mul_lo_u16 v3, v97, 3
	v_mul_lo_u16 v5, v98, 3
	v_and_b32_e32 v98, 0xffff, v98
	s_delay_alu instid0(VALU_DEP_3) | instskip(NEXT) | instid1(VALU_DEP_3)
	v_sub_nc_u16 v3, v246, v3
	v_sub_nc_u16 v5, v159, v5
	s_delay_alu instid0(VALU_DEP_3) | instskip(NEXT) | instid1(VALU_DEP_3)
	v_mul_u32_u24_e32 v98, 9, v98
	v_and_b32_e32 v101, 0xff, v3
	s_delay_alu instid0(VALU_DEP_3) | instskip(NEXT) | instid1(VALU_DEP_2)
	v_and_b32_e32 v102, 0xff, v5
	v_lshlrev_b32_e32 v5, 4, v101
	s_delay_alu instid0(VALU_DEP_2) | instskip(SKIP_2) | instid1(VALU_DEP_1)
	v_add_lshl_u32 v129, v98, v102, 3
	global_load_b128 v[36:39], v5, s[2:3]
	v_and_b32_e32 v160, 0xff, v157
	v_mul_lo_u16 v6, 0xab, v160
	s_delay_alu instid0(VALU_DEP_1) | instskip(SKIP_1) | instid1(VALU_DEP_2)
	v_lshrrev_b16 v100, 9, v6
	v_mul_lo_u16 v6, v99, 3
	v_mul_lo_u16 v3, v100, 3
	s_delay_alu instid0(VALU_DEP_2) | instskip(SKIP_1) | instid1(VALU_DEP_3)
	v_sub_nc_u16 v6, v158, v6
	v_and_b32_e32 v100, 0xffff, v100
	v_sub_nc_u16 v3, v157, v3
	s_delay_alu instid0(VALU_DEP_3) | instskip(SKIP_1) | instid1(VALU_DEP_4)
	v_and_b32_e32 v103, 0xff, v6
	v_lshlrev_b32_e32 v6, 4, v102
	v_mul_u32_u24_e32 v100, 9, v100
	s_delay_alu instid0(VALU_DEP_4)
	v_and_b32_e32 v105, 0xff, v3
	global_load_b128 v[28:31], v6, s[2:3]
	v_and_b32_e32 v1, 0xffff, v94
	v_and_b32_e32 v90, 0xffff, v156
	v_lshlrev_b32_e32 v5, 4, v105
	v_and_b32_e32 v2, 0xffff, v93
	global_load_b128 v[16:19], v5, s[2:3]
	v_and_b32_e32 v97, 0xffff, v97
	v_and_b32_e32 v99, 0xffff, v99
	;; [unrolled: 1-line block ×3, first 2 shown]
	s_delay_alu instid0(VALU_DEP_3) | instskip(NEXT) | instid1(VALU_DEP_3)
	v_mul_u32_u24_e32 v97, 9, v97
	v_mul_u32_u24_e32 v99, 9, v99
	s_delay_alu instid0(VALU_DEP_2) | instskip(NEXT) | instid1(VALU_DEP_2)
	v_add_lshl_u32 v130, v97, v101, 3
	v_add_lshl_u32 v128, v99, v103, 3
	s_wait_loadcnt_dscnt 0x10a
	v_dual_mul_f32 v98, v78, v29 :: v_dual_lshlrev_b32 v3, 4, v103
	v_mul_f32_e32 v97, v79, v29
	v_mul_u32_u24_e32 v7, 0xaaab, v90
	v_mul_u32_u24_e32 v1, 0xaaab, v1
	s_delay_alu instid0(VALU_DEP_4)
	v_fmac_f32_e32 v98, v79, v28
	global_load_b128 v[24:27], v3, s[2:3]
	s_wait_dscnt 0x9
	v_mul_f32_e32 v99, v75, v31
	v_lshrrev_b32_e32 v104, 17, v7
	v_mul_u32_u24_e32 v2, 0xaaab, v2
	v_lshrrev_b32_e32 v106, 17, v1
	s_delay_alu instid0(VALU_DEP_3) | instskip(NEXT) | instid1(VALU_DEP_3)
	v_mul_lo_u16 v1, v104, 3
	v_lshrrev_b32_e32 v107, 17, v2
	s_delay_alu instid0(VALU_DEP_3) | instskip(NEXT) | instid1(VALU_DEP_3)
	v_mul_lo_u16 v2, v106, 3
	v_sub_nc_u16 v108, v156, v1
	s_delay_alu instid0(VALU_DEP_2) | instskip(NEXT) | instid1(VALU_DEP_2)
	v_sub_nc_u16 v94, v94, v2
	v_lshlrev_b16 v2, 1, v108
	v_mad_u16 v104, v104, 9, v108
	s_wait_loadcnt_dscnt 0x106
	v_mul_f32_e32 v108, v82, v19
	s_delay_alu instid0(VALU_DEP_3) | instskip(NEXT) | instid1(VALU_DEP_2)
	v_and_b32_e32 v2, 0xffff, v2
	v_fmac_f32_e32 v108, v83, v18
	s_delay_alu instid0(VALU_DEP_2) | instskip(SKIP_3) | instid1(VALU_DEP_1)
	v_lshlrev_b32_e32 v2, 3, v2
	global_load_b128 v[20:23], v2, s[2:3]
	s_wait_loadcnt 0x1
	v_dual_mul_f32 v101, v69, v25 :: v_dual_and_b32 v0, 0xffff, v92
	v_mul_u32_u24_e32 v0, 0xaaab, v0
	v_dual_mul_f32 v102, v68, v25 :: v_dual_mul_f32 v103, v81, v27
	s_delay_alu instid0(VALU_DEP_2) | instskip(SKIP_1) | instid1(VALU_DEP_3)
	v_lshrrev_b32_e32 v109, 17, v0
	v_mul_lo_u16 v0, v107, 3
	v_fmac_f32_e32 v102, v69, v24
	s_delay_alu instid0(VALU_DEP_2)
	v_sub_nc_u16 v93, v93, v0
	v_lshlrev_b16 v0, 1, v94
	v_mad_u16 v94, v106, 9, v94
	v_mul_f32_e32 v106, v70, v17
	v_add_lshl_u32 v123, v100, v105, 3
	v_mul_f32_e32 v105, v71, v17
	v_mul_u32_u24_e32 v1, 0xaaab, v4
	v_and_b32_e32 v0, 0xffff, v0
	v_mul_f32_e32 v100, v74, v31
	v_fma_f32 v74, v74, v30, -v99
	v_fma_f32 v70, v70, v16, -v105
	v_lshrrev_b32_e32 v110, 17, v1
	v_mul_lo_u16 v1, v109, 3
	v_lshlrev_b32_e32 v0, 3, v0
	v_fmac_f32_e32 v100, v75, v30
	v_fmac_f32_e32 v106, v71, v16
	v_mul_lo_u16 v3, v110, 3
	v_sub_nc_u16 v92, v92, v1
	v_lshlrev_b16 v1, 1, v93
	global_load_b128 v[12:15], v0, s[2:3]
	v_mad_u16 v93, v107, 9, v93
	v_sub_nc_u16 v95, v95, v3
	v_lshlrev_b16 v3, 1, v92
	v_and_b32_e32 v1, 0xffff, v1
	v_mul_f32_e32 v107, v83, v19
	v_mad_u16 v92, v109, 9, v92
	v_lshlrev_b16 v2, 1, v95
	v_and_b32_e32 v3, 0xffff, v3
	v_lshlrev_b32_e32 v1, 3, v1
	v_mad_u16 v95, v110, 9, v95
	v_and_b32_e32 v93, 0xffff, v93
	v_fma_f32 v71, v82, v18, -v107
	v_fma_f32 v75, v68, v24, -v101
	global_load_b128 v[8:11], v1, s[2:3]
	v_and_b32_e32 v0, 0xffff, v2
	s_wait_loadcnt_dscnt 0x204
	v_dual_mul_f32 v79, v64, v21 :: v_dual_lshlrev_b32 v2, 3, v3
	s_delay_alu instid0(VALU_DEP_1) | instskip(SKIP_3) | instid1(VALU_DEP_2)
	v_fmac_f32_e32 v79, v65, v20
	s_wait_loadcnt 0x1
	v_dual_mul_f32 v83, v66, v13 :: v_dual_lshlrev_b32 v0, 3, v0
	v_mul_f32_e32 v82, v67, v13
	v_fmac_f32_e32 v83, v67, v12
	s_wait_loadcnt_dscnt 0x1
	v_mul_f32_e32 v99, v52, v9
	s_clause 0x1
	global_load_b128 v[4:7], v2, s[2:3]
	global_load_b128 v[0:3], v0, s[2:3]
	scratch_store_b32 off, v95, off offset:160 ; 4-byte Folded Spill
	v_and_b32_e32 v95, 0xffff, v104
	v_and_b32_e32 v94, 0xffff, v94
	;; [unrolled: 1-line block ×3, first 2 shown]
	v_lshlrev_b32_e32 v120, 3, v93
	s_delay_alu instid0(VALU_DEP_4)
	v_dual_mul_f32 v93, v76, v37 :: v_dual_lshlrev_b32 v122, 3, v95
	v_mul_f32_e32 v95, v72, v39
	v_mul_f32_e32 v104, v80, v27
	s_wait_dscnt 0x0
	v_mul_f32_e32 v101, v57, v11
	v_fmac_f32_e32 v93, v77, v36
	global_wb scope:SCOPE_SE
	s_wait_loadcnt 0x0
	s_wait_storecnt 0x0
	v_fmac_f32_e32 v95, v73, v38
	v_dual_fmac_f32 v104, v81, v26 :: v_dual_mul_f32 v81, v60, v23
	s_barrier_signal -1
	s_barrier_wait -1
	global_inv scope:SCOPE_SE
	scratch_store_b32 off, v130, off offset:224 ; 4-byte Folded Spill
	v_fmac_f32_e32 v81, v61, v22
	v_fmac_f32_e32 v99, v53, v8
	v_mul_f32_e32 v105, v55, v5
	v_mul_f32_e32 v111, v89, v1
	v_dual_mul_f32 v94, v73, v39 :: v_dual_lshlrev_b32 v121, 3, v94
	v_mul_f32_e32 v107, v54, v5
	v_dual_mul_f32 v92, v77, v37 :: v_dual_lshlrev_b32 v119, 3, v92
	v_fma_f32 v73, v78, v28, -v97
	s_delay_alu instid0(VALU_DEP_4)
	v_fma_f32 v72, v72, v38, -v94
	v_fma_f32 v77, v80, v26, -v103
	v_mul_f32_e32 v78, v65, v21
	v_fma_f32 v76, v76, v36, -v92
	v_mul_f32_e32 v92, v63, v15
	v_mul_f32_e32 v80, v61, v23
	v_dual_mul_f32 v94, v62, v15 :: v_dual_mul_f32 v69, v88, v1
	v_mul_f32_e32 v97, v53, v9
	v_mul_f32_e32 v103, v56, v11
	;; [unrolled: 1-line block ×6, first 2 shown]
	v_fma_f32 v64, v64, v20, -v78
	v_fma_f32 v78, v60, v22, -v80
	;; [unrolled: 1-line block ×4, first 2 shown]
	v_fmac_f32_e32 v94, v63, v14
	v_fma_f32 v62, v52, v8, -v97
	v_fma_f32 v82, v56, v10, -v101
	v_fmac_f32_e32 v103, v57, v10
	v_fma_f32 v63, v54, v4, -v105
	v_add_f32_e32 v54, v32, v76
	v_dual_fmac_f32 v107, v55, v4 :: v_dual_fmac_f32 v68, v85, v2
	v_fma_f32 v92, v58, v6, -v109
	v_dual_fmac_f32 v110, v59, v6 :: v_dual_fmac_f32 v69, v89, v0
	v_fma_f32 v53, v88, v0, -v111
	v_fma_f32 v52, v84, v2, -v112
	v_dual_add_f32 v55, v76, v72 :: v_dual_sub_f32 v66, v93, v95
	v_dual_add_f32 v56, v33, v93 :: v_dual_sub_f32 v67, v76, v72
	v_dual_add_f32 v57, v93, v95 :: v_dual_add_f32 v58, v34, v73
	v_dual_add_f32 v59, v73, v74 :: v_dual_sub_f32 v76, v98, v100
	v_dual_add_f32 v60, v35, v98 :: v_dual_add_f32 v61, v98, v100
	v_dual_sub_f32 v73, v73, v74 :: v_dual_add_f32 v84, v40, v75
	v_dual_add_f32 v85, v75, v77 :: v_dual_sub_f32 v88, v102, v104
	v_dual_add_f32 v89, v41, v102 :: v_dual_add_f32 v98, v70, v71
	v_dual_add_f32 v93, v102, v104 :: v_dual_add_f32 v102, v43, v106
	v_add_f32_e32 v97, v42, v70
	v_add_f32_e32 v105, v106, v108
	v_dual_sub_f32 v75, v75, v77 :: v_dual_add_f32 v54, v54, v72
	v_fma_f32 v32, -0.5, v55, v32
	v_add_f32_e32 v55, v56, v95
	v_fma_f32 v33, -0.5, v57, v33
	v_dual_add_f32 v56, v58, v74 :: v_dual_add_f32 v57, v60, v100
	v_fma_f32 v34, -0.5, v59, v34
	v_dual_fmac_f32 v35, -0.5, v61 :: v_dual_add_f32 v72, v48, v64
	v_dual_add_f32 v58, v84, v77 :: v_dual_sub_f32 v101, v106, v108
	v_add_f32_e32 v60, v97, v71
	v_fma_f32 v40, -0.5, v85, v40
	v_dual_add_f32 v59, v89, v104 :: v_dual_sub_f32 v84, v79, v81
	v_fma_f32 v41, -0.5, v93, v41
	v_fma_f32 v42, -0.5, v98, v42
	v_dual_add_f32 v61, v102, v108 :: v_dual_add_f32 v100, v44, v62
	v_dual_add_f32 v74, v64, v78 :: v_dual_fmac_f32 v43, -0.5, v105
	v_sub_f32_e32 v98, v65, v80
	v_dual_add_f32 v77, v49, v79 :: v_dual_add_f32 v102, v62, v82
	v_dual_add_f32 v79, v79, v81 :: v_dual_sub_f32 v108, v62, v82
	v_dual_sub_f32 v85, v64, v78 :: v_dual_sub_f32 v104, v99, v103
	v_dual_add_f32 v89, v50, v65 :: v_dual_sub_f32 v112, v107, v110
	v_dual_add_f32 v93, v65, v80 :: v_dual_fmamk_f32 v62, v66, 0x3f5db3d7, v32
	v_dual_sub_f32 v95, v83, v94 :: v_dual_sub_f32 v116, v69, v68
	v_dual_add_f32 v97, v51, v83 :: v_dual_sub_f32 v118, v53, v52
	v_dual_add_f32 v83, v83, v94 :: v_dual_fmamk_f32 v64, v76, 0x3f5db3d7, v34
	v_dual_add_f32 v105, v45, v99 :: v_dual_sub_f32 v114, v63, v92
	v_dual_add_f32 v99, v99, v103 :: v_dual_fmac_f32 v32, 0xbf5db3d7, v66
	v_dual_add_f32 v111, v63, v92 :: v_dual_fmamk_f32 v66, v88, 0x3f5db3d7, v40
	v_dual_add_f32 v113, v47, v107 :: v_dual_fmac_f32 v40, 0xbf5db3d7, v88
	v_add_f32_e32 v107, v107, v110
	v_add_f32_e32 v115, v53, v52
	v_dual_add_f32 v117, v69, v68 :: v_dual_add_f32 v72, v72, v78
	v_sub_f32_e32 v106, v70, v71
	v_dual_add_f32 v109, v46, v63 :: v_dual_fmac_f32 v34, 0xbf5db3d7, v76
	v_fmamk_f32 v70, v101, 0x3f5db3d7, v42
	v_fmac_f32_e32 v42, 0xbf5db3d7, v101
	v_fma_f32 v48, -0.5, v74, v48
	v_fma_f32 v49, -0.5, v79, v49
	;; [unrolled: 1-line block ×6, first 2 shown]
	v_fmac_f32_e32 v51, -0.5, v83
	v_fmac_f32_e32 v47, -0.5, v107
	v_fma_f32 v126, -0.5, v115, v86
	v_fma_f32 v127, -0.5, v117, v87
	v_dual_fmamk_f32 v63, v67, 0xbf5db3d7, v33 :: v_dual_add_f32 v74, v89, v80
	v_dual_fmac_f32 v33, 0x3f5db3d7, v67 :: v_dual_add_f32 v76, v100, v82
	v_fmamk_f32 v65, v73, 0xbf5db3d7, v35
	v_dual_fmac_f32 v35, 0x3f5db3d7, v73 :: v_dual_add_f32 v78, v109, v92
	v_fmamk_f32 v67, v75, 0xbf5db3d7, v41
	v_dual_fmac_f32 v41, 0x3f5db3d7, v75 :: v_dual_fmamk_f32 v80, v84, 0x3f5db3d7, v48
	v_fmamk_f32 v71, v106, 0xbf5db3d7, v43
	v_dual_fmac_f32 v43, 0x3f5db3d7, v106 :: v_dual_fmamk_f32 v82, v95, 0x3f5db3d7, v50
	v_add_f32_e32 v73, v77, v81
	v_dual_add_f32 v75, v97, v94 :: v_dual_fmamk_f32 v88, v112, 0x3f5db3d7, v46
	v_dual_add_f32 v77, v105, v103 :: v_dual_fmamk_f32 v124, v116, 0x3f5db3d7, v126
	v_dual_add_f32 v79, v113, v110 :: v_dual_fmac_f32 v126, 0xbf5db3d7, v116
	v_dual_fmac_f32 v48, 0xbf5db3d7, v84 :: v_dual_fmamk_f32 v81, v85, 0xbf5db3d7, v49
	v_fmac_f32_e32 v49, 0x3f5db3d7, v85
	v_fmac_f32_e32 v50, 0xbf5db3d7, v95
	v_fmamk_f32 v84, v104, 0x3f5db3d7, v44
	v_dual_fmac_f32 v44, 0xbf5db3d7, v104 :: v_dual_fmamk_f32 v85, v108, 0xbf5db3d7, v45
	v_fmac_f32_e32 v45, 0x3f5db3d7, v108
	v_dual_fmac_f32 v46, 0xbf5db3d7, v112 :: v_dual_fmamk_f32 v83, v98, 0xbf5db3d7, v51
	v_fmac_f32_e32 v51, 0x3f5db3d7, v98
	v_fmamk_f32 v89, v114, 0xbf5db3d7, v47
	v_fmac_f32_e32 v47, 0x3f5db3d7, v114
	v_fmamk_f32 v125, v118, 0xbf5db3d7, v127
	v_fmac_f32_e32 v127, 0x3f5db3d7, v118
	ds_store_2addr_b64 v130, v[54:55], v[62:63] offset1:3
	ds_store_b64 v130, v[32:33] offset:48
	ds_store_2addr_b64 v129, v[56:57], v[64:65] offset1:3
	scratch_store_b32 off, v129, off offset:220 ; 4-byte Folded Spill
	ds_store_b64 v129, v[34:35] offset:48
	ds_store_2addr_b64 v128, v[58:59], v[66:67] offset1:3
	scratch_store_b32 off, v128, off offset:200 ; 4-byte Folded Spill
	;; [unrolled: 3-line block ×7, first 2 shown]
	ds_store_b64 v119, v[46:47] offset:48
	s_and_saveexec_b32 s0, vcc_lo
	s_cbranch_execz .LBB0_11
; %bb.10:
	scratch_load_b32 v33, off, off offset:160 ; 4-byte Folded Reload
	v_add_f32_e32 v32, v87, v69
	v_add_f32_e32 v34, v86, v53
	s_wait_loadcnt 0x0
	v_and_b32_e32 v35, 0xffff, v33
	s_delay_alu instid0(VALU_DEP_3) | instskip(NEXT) | instid1(VALU_DEP_3)
	v_add_f32_e32 v33, v32, v68
	v_add_f32_e32 v32, v34, v52
	s_delay_alu instid0(VALU_DEP_3)
	v_lshlrev_b32_e32 v34, 3, v35
	ds_store_2addr_b64 v34, v[32:33], v[124:125] offset1:3
	ds_store_b64 v34, v[126:127] offset:48
.LBB0_11:
	s_wait_alu 0xfffe
	s_or_b32 exec_lo, exec_lo, s0
	v_mul_lo_u16 v32, v91, 57
	v_mul_lo_u16 v33, v96, 57
	global_wb scope:SCOPE_SE
	s_wait_storecnt_dscnt 0x0
	s_barrier_signal -1
	s_barrier_wait -1
	v_lshrrev_b16 v62, 9, v32
	v_lshrrev_b16 v57, 9, v33
	global_inv scope:SCOPE_SE
	v_mul_lo_u16 v32, v62, 9
	v_mul_lo_u16 v33, v57, 9
	s_delay_alu instid0(VALU_DEP_2) | instskip(NEXT) | instid1(VALU_DEP_2)
	v_sub_nc_u16 v32, v246, v32
	v_sub_nc_u16 v33, v159, v33
	s_delay_alu instid0(VALU_DEP_2) | instskip(NEXT) | instid1(VALU_DEP_2)
	v_and_b32_e32 v63, 0xff, v32
	v_and_b32_e32 v58, 0xff, v33
	s_delay_alu instid0(VALU_DEP_2) | instskip(NEXT) | instid1(VALU_DEP_2)
	v_lshlrev_b32_e32 v40, 5, v63
	v_lshlrev_b32_e32 v48, 5, v58
	s_clause 0x3
	global_load_b128 v[44:47], v40, s[2:3] offset:48
	global_load_b128 v[32:35], v48, s[2:3] offset:48
	;; [unrolled: 1-line block ×4, first 2 shown]
	v_add_nc_u32_e32 v56, 0x1000, v255
	v_add_nc_u32_e32 v52, 0x2400, v255
	ds_load_2addr_b64 v[68:71], v56 offset0:118 offset1:181
	ds_load_2addr_b64 v[52:55], v52 offset0:108 offset1:171
	ds_load_2addr_b64 v[97:100], v255 offset1:63
	ds_load_b64 v[121:122], v255 offset:12096
	s_wait_loadcnt_dscnt 0x303
	v_mul_f32_e32 v60, v69, v47
	s_wait_loadcnt 0x2
	v_mul_f32_e32 v61, v71, v35
	s_wait_loadcnt_dscnt 0x102
	v_mul_f32_e32 v65, v52, v43
	v_mul_f32_e32 v59, v70, v35
	v_fma_f32 v66, v68, v46, -v60
	s_wait_loadcnt 0x0
	v_mul_f32_e32 v60, v54, v51
	v_mul_f32_e32 v67, v53, v43
	v_fma_f32 v61, v70, v34, -v61
	v_fmac_f32_e32 v59, v71, v34
	s_delay_alu instid0(VALU_DEP_4) | instskip(NEXT) | instid1(VALU_DEP_4)
	v_dual_fmac_f32 v60, v55, v50 :: v_dual_add_nc_u32 v165, 0x2000, v255
	v_fma_f32 v123, v52, v42, -v67
	v_and_b32_e32 v52, 0xffff, v62
	v_fmac_f32_e32 v65, v53, v42
	v_mul_u32_u24_e32 v67, 0xe38f, v90
	s_delay_alu instid0(VALU_DEP_3) | instskip(NEXT) | instid1(VALU_DEP_2)
	v_mul_u32_u24_e32 v52, 45, v52
	v_lshrrev_b32_e32 v146, 19, v67
	s_delay_alu instid0(VALU_DEP_2) | instskip(SKIP_4) | instid1(VALU_DEP_2)
	v_add_lshl_u32 v154, v52, v63, 3
	v_add_nc_u32_e32 v52, 0x1800, v255
	ds_load_2addr_b64 v[92:95], v52 offset0:114 offset1:177
	v_mul_f32_e32 v64, v68, v47
	v_mul_f32_e32 v68, v55, v51
	v_dual_fmac_f32 v64, v69, v46 :: v_dual_add_nc_u32 v69, 0x400, v255
	ds_load_2addr_b64 v[140:143], v69 offset0:124 offset1:187
	v_mul_lo_u16 v69, v146, 9
	s_delay_alu instid0(VALU_DEP_1)
	v_sub_nc_u16 v147, v156, v69
	s_wait_dscnt 0x1
	v_mul_f32_e32 v139, v94, v41
	v_fma_f32 v136, v54, v50, -v68
	v_mul_lo_u16 v68, v161, 57
	v_add_nc_u32_e32 v163, 0x2800, v255
	s_delay_alu instid0(VALU_DEP_4) | instskip(NEXT) | instid1(VALU_DEP_3)
	v_dual_fmac_f32 v139, v95, v40 :: v_dual_add_nc_u32 v162, 0x1400, v255
	v_lshrrev_b16 v144, 9, v68
	v_mul_lo_u16 v68, v160, 57
	s_delay_alu instid0(VALU_DEP_3) | instskip(SKIP_2) | instid1(VALU_DEP_3)
	v_sub_f32_e32 v63, v65, v139
	s_wait_dscnt 0x0
	v_mul_f32_e32 v53, v143, v45
	v_lshrrev_b16 v145, 9, v68
	v_mul_lo_u16 v67, v144, 9
	s_delay_alu instid0(VALU_DEP_3) | instskip(SKIP_2) | instid1(VALU_DEP_4)
	v_fma_f32 v55, v142, v44, -v53
	v_mul_f32_e32 v53, v95, v41
	v_mul_f32_e32 v142, v142, v45
	v_sub_nc_u16 v67, v158, v67
	v_mul_lo_u16 v68, v145, 9
	v_sub_f32_e32 v151, v55, v123
	v_fma_f32 v137, v94, v40, -v53
	v_fmac_f32_e32 v142, v143, v44
	v_sub_f32_e32 v53, v55, v66
	v_sub_nc_u16 v68, v157, v68
	s_delay_alu instid0(VALU_DEP_4) | instskip(SKIP_3) | instid1(VALU_DEP_4)
	v_dual_sub_f32 v153, v66, v137 :: v_dual_and_b32 v148, 0xff, v67
	v_sub_f32_e32 v54, v123, v137
	v_sub_f32_e32 v62, v142, v64
	v_lshlrev_b16 v67, 5, v147
	v_lshlrev_b32_e32 v76, 5, v148
	s_delay_alu instid0(VALU_DEP_4) | instskip(SKIP_4) | instid1(VALU_DEP_4)
	v_dual_add_f32 v138, v53, v54 :: v_dual_and_b32 v149, 0xff, v68
	v_add_f32_e32 v53, v66, v137
	v_add_f32_e32 v143, v62, v63
	v_dual_add_f32 v54, v64, v139 :: v_dual_add_f32 v63, v98, v142
	v_sub_f32_e32 v150, v142, v65
	v_fma_f32 v53, -0.5, v53, v97
	v_add_nc_u32_e32 v101, 0x1c00, v255
	s_delay_alu instid0(VALU_DEP_4) | instskip(SKIP_4) | instid1(VALU_DEP_4)
	v_fma_f32 v54, -0.5, v54, v98
	v_add_f32_e32 v63, v63, v64
	v_add_nc_u32_e32 v155, 0x800, v255
	v_dual_fmamk_f32 v94, v150, 0x3f737871, v53 :: v_dual_lshlrev_b32 v77, 5, v149
	v_and_b32_e32 v67, 0xffff, v67
	v_add_f32_e32 v63, v63, v139
	v_dual_add_f32 v62, v97, v55 :: v_dual_fmac_f32 v53, 0xbf737871, v150
	v_fmamk_f32 v95, v151, 0xbf737871, v54
	s_delay_alu instid0(VALU_DEP_4) | instskip(NEXT) | instid1(VALU_DEP_3)
	v_add_co_u32 v67, s0, s2, v67
	v_dual_add_f32 v63, v63, v65 :: v_dual_add_f32 v62, v62, v66
	s_delay_alu instid0(VALU_DEP_3) | instskip(SKIP_2) | instid1(VALU_DEP_3)
	v_dual_sub_f32 v152, v64, v139 :: v_dual_fmac_f32 v95, 0xbf167918, v153
	s_wait_alu 0xf1ff
	v_add_co_ci_u32_e64 v68, null, s3, 0, s0
	v_add_f32_e32 v62, v62, v137
	s_delay_alu instid0(VALU_DEP_3)
	v_fmac_f32_e32 v94, 0x3f167918, v152
	v_sub_f32_e32 v64, v64, v142
	s_clause 0x5
	global_load_b128 v[72:75], v[67:68], off offset:48
	global_load_b128 v[68:71], v[67:68], off offset:64
	global_load_b128 v[88:91], v76, s[2:3] offset:48
	global_load_b128 v[84:87], v76, s[2:3] offset:64
	;; [unrolled: 1-line block ×4, first 2 shown]
	v_add_nc_u32_e32 v164, 0xc00, v255
	v_add_f32_e32 v62, v62, v123
	v_dual_fmac_f32 v94, 0x3e9e377a, v138 :: v_dual_fmac_f32 v95, 0x3e9e377a, v143
	ds_load_2addr_b64 v[101:104], v101 offset0:112 offset1:175
	ds_load_2addr_b64 v[105:108], v255 offset0:126 offset1:189
	;; [unrolled: 1-line block ×7, first 2 shown]
	global_wb scope:SCOPE_SE
	s_wait_loadcnt_dscnt 0x0
	s_barrier_signal -1
	s_barrier_wait -1
	global_inv scope:SCOPE_SE
	ds_store_2addr_b64 v154, v[62:63], v[94:95] offset1:9
	v_sub_f32_e32 v62, v66, v55
	v_sub_f32_e32 v63, v137, v123
	v_dual_add_f32 v55, v55, v123 :: v_dual_add_f32 v66, v142, v65
	v_dual_sub_f32 v65, v139, v65 :: v_dual_fmac_f32 v54, 0x3f737871, v151
	s_delay_alu instid0(VALU_DEP_3) | instskip(NEXT) | instid1(VALU_DEP_3)
	v_add_f32_e32 v67, v62, v63
	v_fma_f32 v62, -0.5, v55, v97
	s_delay_alu instid0(VALU_DEP_4) | instskip(NEXT) | instid1(VALU_DEP_4)
	v_fma_f32 v63, -0.5, v66, v98
	v_add_f32_e32 v55, v64, v65
	v_fmac_f32_e32 v53, 0xbf167918, v152
	v_fmac_f32_e32 v54, 0x3f167918, v153
	v_fmamk_f32 v64, v152, 0xbf737871, v62
	v_fmamk_f32 v65, v153, 0x3f737871, v63
	v_fmac_f32_e32 v63, 0xbf737871, v153
	v_fmac_f32_e32 v62, 0x3f737871, v152
	v_fmac_f32_e32 v54, 0x3e9e377a, v143
	v_fmac_f32_e32 v64, 0x3f167918, v150
	v_fmac_f32_e32 v53, 0x3e9e377a, v138
	v_fmac_f32_e32 v63, 0x3f167918, v151
	v_cmp_gt_u16_e64 s0, 36, v246
	v_fmac_f32_e32 v65, 0xbf167918, v151
	v_fmac_f32_e32 v64, 0x3e9e377a, v67
	ds_store_b64 v154, v[53:54] offset:288
	v_and_b32_e32 v53, 0xffff, v57
	v_fmac_f32_e32 v63, 0x3e9e377a, v55
	v_fmac_f32_e32 v65, 0x3e9e377a, v55
	s_delay_alu instid0(VALU_DEP_3) | instskip(NEXT) | instid1(VALU_DEP_1)
	v_mul_u32_u24_e32 v53, 45, v53
	v_add_lshl_u32 v123, v53, v58, 3
	v_dual_mul_f32 v53, v102, v49 :: v_dual_fmac_f32 v62, 0xbf167918, v150
	scratch_store_b32 off, v154, off offset:228 ; 4-byte Folded Spill
	v_fma_f32 v55, v101, v48, -v53
	v_dual_fmac_f32 v62, 0x3e9e377a, v67 :: v_dual_mul_f32 v53, v110, v33
	s_delay_alu instid0(VALU_DEP_2) | instskip(SKIP_4) | instid1(VALU_DEP_3)
	v_sub_f32_e32 v57, v55, v136
	ds_store_2addr_b64 v154, v[64:65], v[62:63] offset0:18 offset1:27
	v_fma_f32 v62, v109, v32, -v53
	v_add_f32_e32 v53, v61, v55
	v_mul_f32_e32 v64, v101, v49
	v_dual_mul_f32 v65, v109, v33 :: v_dual_sub_f32 v98, v62, v136
	v_dual_add_f32 v54, v62, v136 :: v_dual_add_f32 v63, v99, v62
	s_delay_alu instid0(VALU_DEP_4) | instskip(NEXT) | instid1(VALU_DEP_4)
	v_fma_f32 v53, -0.5, v53, v99
	v_fmac_f32_e32 v64, v102, v48
	s_delay_alu instid0(VALU_DEP_4) | instskip(NEXT) | instid1(VALU_DEP_4)
	v_fmac_f32_e32 v65, v110, v32
	v_fma_f32 v99, -0.5, v54, v99
	v_sub_f32_e32 v54, v61, v62
	s_delay_alu instid0(VALU_DEP_4) | instskip(NEXT) | instid1(VALU_DEP_4)
	v_dual_sub_f32 v62, v62, v61 :: v_dual_sub_f32 v67, v64, v60
	v_add_f32_e32 v66, v100, v65
	v_sub_f32_e32 v94, v59, v64
	s_delay_alu instid0(VALU_DEP_4) | instskip(SKIP_1) | instid1(VALU_DEP_1)
	v_add_f32_e32 v58, v54, v57
	v_add_f32_e32 v54, v59, v64
	v_fma_f32 v54, -0.5, v54, v100
	v_sub_f32_e32 v97, v61, v55
	v_add_f32_e32 v57, v65, v60
	s_delay_alu instid0(VALU_DEP_1) | instskip(SKIP_1) | instid1(VALU_DEP_1)
	v_fmac_f32_e32 v100, -0.5, v57
	v_sub_f32_e32 v57, v59, v65
	v_add_f32_e32 v67, v57, v67
	v_fmamk_f32 v57, v94, 0xbf737871, v99
	v_fmac_f32_e32 v99, 0x3f737871, v94
	v_sub_f32_e32 v95, v65, v60
	s_delay_alu instid0(VALU_DEP_1) | instskip(NEXT) | instid1(VALU_DEP_3)
	v_fmac_f32_e32 v57, 0x3f167918, v95
	v_fmac_f32_e32 v99, 0xbf167918, v95
	s_delay_alu instid0(VALU_DEP_2) | instskip(NEXT) | instid1(VALU_DEP_2)
	v_fmac_f32_e32 v57, 0x3e9e377a, v58
	v_fmac_f32_e32 v99, 0x3e9e377a, v58
	v_fmamk_f32 v58, v97, 0x3f737871, v100
	v_fmac_f32_e32 v100, 0xbf737871, v97
	s_delay_alu instid0(VALU_DEP_2) | instskip(NEXT) | instid1(VALU_DEP_2)
	v_fmac_f32_e32 v58, 0xbf167918, v98
	v_fmac_f32_e32 v100, 0x3f167918, v98
	s_delay_alu instid0(VALU_DEP_2) | instskip(NEXT) | instid1(VALU_DEP_2)
	v_fmac_f32_e32 v58, 0x3e9e377a, v67
	v_fmac_f32_e32 v100, 0x3e9e377a, v67
	ds_store_2addr_b64 v123, v[57:58], v[99:100] offset0:18 offset1:27
	v_add_f32_e32 v58, v66, v59
	s_delay_alu instid0(VALU_DEP_1) | instskip(NEXT) | instid1(VALU_DEP_1)
	v_dual_sub_f32 v59, v65, v59 :: v_dual_add_f32 v58, v58, v64
	v_add_f32_e32 v58, v58, v60
	v_sub_f32_e32 v60, v60, v64
	v_mul_f32_e32 v57, v112, v89
	v_mul_f32_e32 v101, v103, v85
	s_delay_alu instid0(VALU_DEP_2) | instskip(SKIP_1) | instid1(VALU_DEP_3)
	v_fma_f32 v67, v111, v88, -v57
	v_mul_f32_e32 v57, v104, v85
	v_fmac_f32_e32 v101, v104, v84
	s_delay_alu instid0(VALU_DEP_2) | instskip(SKIP_1) | instid1(VALU_DEP_1)
	v_fma_f32 v100, v103, v84, -v57
	v_mul_f32_e32 v57, v114, v91
	v_fma_f32 v102, v113, v90, -v57
	v_mul_f32_e32 v57, v116, v83
	s_delay_alu instid0(VALU_DEP_2) | instskip(NEXT) | instid1(VALU_DEP_2)
	v_sub_f32_e32 v65, v102, v100
	v_fma_f32 v104, v115, v82, -v57
	v_mul_f32_e32 v57, v118, v87
	s_delay_alu instid0(VALU_DEP_1) | instskip(SKIP_2) | instid1(VALU_DEP_2)
	v_fma_f32 v110, v117, v86, -v57
	v_mul_f32_e32 v99, v111, v89
	v_mul_f32_e32 v57, v120, v79
	v_fmac_f32_e32 v99, v112, v88
	s_delay_alu instid0(VALU_DEP_2) | instskip(SKIP_4) | instid1(VALU_DEP_4)
	v_fma_f32 v112, v119, v78, -v57
	v_add_f32_e32 v57, v63, v61
	v_sub_f32_e32 v63, v67, v110
	v_dual_add_f32 v61, v59, v60 :: v_dual_fmamk_f32 v60, v98, 0xbf737871, v54
	v_fmamk_f32 v59, v95, 0x3f737871, v53
	v_add_f32_e32 v57, v57, v55
	v_dual_sub_f32 v55, v136, v55 :: v_dual_fmac_f32 v54, 0x3f737871, v98
	s_delay_alu instid0(VALU_DEP_4) | instskip(SKIP_1) | instid1(VALU_DEP_3)
	v_fmac_f32_e32 v60, 0xbf167918, v97
	v_dual_fmac_f32 v53, 0xbf737871, v95 :: v_dual_mul_f32 v98, v134, v69
	v_dual_add_f32 v55, v62, v55 :: v_dual_fmac_f32 v54, 0x3f167918, v97
	s_delay_alu instid0(VALU_DEP_3) | instskip(SKIP_1) | instid1(VALU_DEP_4)
	v_dual_fmac_f32 v60, 0x3e9e377a, v61 :: v_dual_mul_f32 v111, v117, v87
	v_mul_f32_e32 v103, v113, v91
	v_fmac_f32_e32 v53, 0xbf167918, v94
	s_delay_alu instid0(VALU_DEP_4) | instskip(NEXT) | instid1(VALU_DEP_4)
	v_dual_fmac_f32 v54, 0x3e9e377a, v61 :: v_dual_mul_f32 v113, v119, v79
	v_fmac_f32_e32 v111, v118, v86
	v_fmac_f32_e32 v59, 0x3f167918, v94
	;; [unrolled: 1-line block ×3, first 2 shown]
	v_add_f32_e32 v57, v57, v136
	s_delay_alu instid0(VALU_DEP_3) | instskip(SKIP_3) | instid1(VALU_DEP_1)
	v_dual_fmac_f32 v98, v135, v68 :: v_dual_fmac_f32 v59, 0x3e9e377a, v55
	ds_store_2addr_b64 v123, v[57:58], v[59:60] offset1:9
	v_sub_f32_e32 v58, v111, v101
	v_sub_f32_e32 v57, v99, v103
	v_dual_sub_f32 v64, v103, v101 :: v_dual_add_f32 v61, v57, v58
	v_fmac_f32_e32 v53, 0x3e9e377a, v55
	v_add_f32_e32 v58, v106, v99
	v_add_f32_e32 v57, v105, v67
	ds_store_b64 v123, v[53:54] offset:288
	v_and_b32_e32 v53, 0xffff, v144
	v_sub_f32_e32 v54, v110, v100
	v_add_f32_e32 v58, v58, v103
	v_mul_f32_e32 v109, v115, v83
	v_add_f32_e32 v57, v57, v102
	v_mul_u32_u24_e32 v53, 45, v53
	s_delay_alu instid0(VALU_DEP_2) | instskip(NEXT) | instid1(VALU_DEP_2)
	v_dual_add_f32 v58, v58, v101 :: v_dual_add_f32 v57, v57, v100
	v_add_lshl_u32 v95, v53, v148, 3
	v_sub_f32_e32 v53, v67, v102
	scratch_store_b32 off, v123, off offset:232 ; 4-byte Folded Spill
	v_add_f32_e32 v57, v57, v110
	v_dual_add_f32 v55, v53, v54 :: v_dual_add_f32 v54, v103, v101
	s_delay_alu instid0(VALU_DEP_1) | instskip(NEXT) | instid1(VALU_DEP_1)
	v_fma_f32 v54, -0.5, v54, v106
	v_fmamk_f32 v60, v63, 0xbf737871, v54
	v_fmac_f32_e32 v54, 0x3f737871, v63
	s_delay_alu instid0(VALU_DEP_2) | instskip(NEXT) | instid1(VALU_DEP_2)
	v_fmac_f32_e32 v60, 0xbf167918, v65
	v_dual_fmac_f32 v54, 0x3f167918, v65 :: v_dual_fmac_f32 v109, v116, v82
	v_add_f32_e32 v58, v58, v111
	v_sub_f32_e32 v62, v99, v111
	s_delay_alu instid0(VALU_DEP_4) | instskip(NEXT) | instid1(VALU_DEP_4)
	v_fmac_f32_e32 v60, 0x3e9e377a, v61
	v_fmac_f32_e32 v54, 0x3e9e377a, v61
	v_dual_mul_f32 v61, v132, v77 :: v_dual_add_f32 v66, v99, v111
	s_delay_alu instid0(VALU_DEP_1) | instskip(SKIP_1) | instid1(VALU_DEP_1)
	v_fmac_f32_e32 v61, v133, v76
	v_add_f32_e32 v53, v102, v100
	v_fma_f32 v53, -0.5, v53, v105
	s_delay_alu instid0(VALU_DEP_1) | instskip(SKIP_1) | instid1(VALU_DEP_2)
	v_fmamk_f32 v59, v62, 0x3f737871, v53
	v_fmac_f32_e32 v53, 0xbf737871, v62
	v_fmac_f32_e32 v59, 0x3f167918, v64
	s_delay_alu instid0(VALU_DEP_1)
	v_fmac_f32_e32 v59, 0x3e9e377a, v55
	ds_store_2addr_b64 v95, v[57:58], v[59:60] offset1:9
	v_sub_f32_e32 v58, v100, v110
	v_dual_fmac_f32 v113, v120, v78 :: v_dual_sub_f32 v60, v103, v99
	v_fmac_f32_e32 v53, 0xbf167918, v64
	v_sub_f32_e32 v57, v102, v67
	v_add_f32_e32 v59, v67, v110
	v_sub_f32_e32 v67, v101, v111
	s_delay_alu instid0(VALU_DEP_3) | instskip(NEXT) | instid1(VALU_DEP_3)
	v_dual_fmac_f32 v53, 0x3e9e377a, v55 :: v_dual_add_f32 v94, v57, v58
	v_fma_f32 v57, -0.5, v59, v105
	v_fma_f32 v58, -0.5, v66, v106
	s_delay_alu instid0(VALU_DEP_4)
	v_add_f32_e32 v66, v60, v67
	ds_store_b64 v95, v[53:54] offset:288
	v_and_b32_e32 v53, 0xffff, v145
	v_fmamk_f32 v59, v64, 0xbf737871, v57
	v_dual_fmac_f32 v57, 0x3f737871, v64 :: v_dual_fmamk_f32 v60, v65, 0x3f737871, v58
	v_fmac_f32_e32 v58, 0xbf737871, v65
	s_delay_alu instid0(VALU_DEP_4) | instskip(NEXT) | instid1(VALU_DEP_4)
	v_mul_u32_u24_e32 v53, 45, v53
	v_fmac_f32_e32 v59, 0x3f167918, v62
	s_delay_alu instid0(VALU_DEP_4) | instskip(SKIP_1) | instid1(VALU_DEP_4)
	v_dual_fmac_f32 v57, 0xbf167918, v62 :: v_dual_mul_f32 v62, v128, v81
	v_sub_f32_e32 v64, v61, v113
	v_add_lshl_u32 v99, v53, v149, 3
	v_mul_f32_e32 v53, v133, v77
	scratch_store_b32 off, v95, off offset:236 ; 4-byte Folded Spill
	v_fmac_f32_e32 v62, v129, v80
	v_fmac_f32_e32 v60, 0xbf167918, v63
	;; [unrolled: 1-line block ×3, first 2 shown]
	v_fma_f32 v55, v132, v76, -v53
	v_fmac_f32_e32 v57, 0x3e9e377a, v94
	v_add_f32_e32 v63, v108, v62
	v_fmac_f32_e32 v59, 0x3e9e377a, v94
	v_fmac_f32_e32 v60, 0x3e9e377a, v66
	v_dual_fmac_f32 v58, 0x3e9e377a, v66 :: v_dual_sub_f32 v67, v104, v55
	v_mul_f32_e32 v53, v129, v81
	v_sub_f32_e32 v65, v109, v61
	v_sub_f32_e32 v66, v62, v113
	ds_store_2addr_b64 v95, v[59:60], v[57:58] offset0:18 offset1:27
	v_mul_f32_e32 v95, v130, v73
	v_fma_f32 v59, v128, v80, -v53
	v_add_f32_e32 v53, v104, v55
	s_delay_alu instid0(VALU_DEP_3) | instskip(NEXT) | instid1(VALU_DEP_3)
	v_fmac_f32_e32 v95, v131, v72
	v_add_f32_e32 v54, v59, v112
	v_add_f32_e32 v60, v107, v59
	s_delay_alu instid0(VALU_DEP_4) | instskip(SKIP_4) | instid1(VALU_DEP_1)
	v_fma_f32 v53, -0.5, v53, v107
	v_sub_f32_e32 v94, v59, v112
	v_sub_f32_e32 v57, v55, v112
	v_fma_f32 v107, -0.5, v54, v107
	v_sub_f32_e32 v54, v104, v59
	v_add_f32_e32 v58, v54, v57
	v_add_f32_e32 v54, v109, v61
	;; [unrolled: 1-line block ×3, first 2 shown]
	s_delay_alu instid0(VALU_DEP_2) | instskip(NEXT) | instid1(VALU_DEP_2)
	v_fma_f32 v54, -0.5, v54, v108
	v_dual_fmac_f32 v108, -0.5, v57 :: v_dual_sub_f32 v57, v109, v62
	s_delay_alu instid0(VALU_DEP_1) | instskip(SKIP_2) | instid1(VALU_DEP_2)
	v_add_f32_e32 v64, v57, v64
	v_fmamk_f32 v57, v65, 0xbf737871, v107
	v_fmac_f32_e32 v107, 0x3f737871, v65
	v_fmac_f32_e32 v57, 0x3f167918, v66
	s_delay_alu instid0(VALU_DEP_2) | instskip(NEXT) | instid1(VALU_DEP_2)
	v_fmac_f32_e32 v107, 0xbf167918, v66
	v_fmac_f32_e32 v57, 0x3e9e377a, v58
	s_delay_alu instid0(VALU_DEP_2) | instskip(SKIP_2) | instid1(VALU_DEP_2)
	v_fmac_f32_e32 v107, 0x3e9e377a, v58
	v_fmamk_f32 v58, v67, 0x3f737871, v108
	v_fmac_f32_e32 v108, 0xbf737871, v67
	v_fmac_f32_e32 v58, 0xbf167918, v94
	s_delay_alu instid0(VALU_DEP_2) | instskip(NEXT) | instid1(VALU_DEP_2)
	v_fmac_f32_e32 v108, 0x3f167918, v94
	v_fmac_f32_e32 v58, 0x3e9e377a, v64
	s_delay_alu instid0(VALU_DEP_2) | instskip(SKIP_3) | instid1(VALU_DEP_2)
	v_fmac_f32_e32 v108, 0x3e9e377a, v64
	ds_store_2addr_b64 v99, v[57:58], v[107:108] offset0:18 offset1:27
	v_mul_f32_e32 v57, v131, v73
	v_add_f32_e32 v58, v63, v109
	v_fma_f32 v64, v130, v72, -v57
	s_delay_alu instid0(VALU_DEP_2) | instskip(SKIP_1) | instid1(VALU_DEP_2)
	v_dual_mul_f32 v57, v93, v75 :: v_dual_add_f32 v58, v58, v61
	v_sub_f32_e32 v61, v113, v61
	v_fma_f32 v97, v92, v74, -v57
	v_dual_mul_f32 v92, v92, v75 :: v_dual_mul_f32 v57, v135, v69
	s_delay_alu instid0(VALU_DEP_4) | instskip(NEXT) | instid1(VALU_DEP_2)
	v_add_f32_e32 v58, v58, v113
	v_fmac_f32_e32 v92, v93, v74
	s_delay_alu instid0(VALU_DEP_3) | instskip(SKIP_2) | instid1(VALU_DEP_2)
	v_fma_f32 v93, v134, v68, -v57
	v_add_f32_e32 v57, v60, v104
	v_dual_sub_f32 v59, v59, v104 :: v_dual_sub_f32 v60, v62, v109
	v_dual_sub_f32 v62, v92, v98 :: v_dual_add_f32 v57, v57, v55
	v_sub_f32_e32 v55, v112, v55
	s_delay_alu instid0(VALU_DEP_3) | instskip(NEXT) | instid1(VALU_DEP_3)
	v_dual_add_f32 v61, v60, v61 :: v_dual_fmamk_f32 v60, v94, 0xbf737871, v54
	v_dual_fmac_f32 v54, 0x3f737871, v94 :: v_dual_add_f32 v57, v57, v112
	s_delay_alu instid0(VALU_DEP_3) | instskip(SKIP_1) | instid1(VALU_DEP_4)
	v_add_f32_e32 v55, v59, v55
	v_fmamk_f32 v59, v66, 0x3f737871, v53
	v_fmac_f32_e32 v60, 0xbf167918, v67
	v_fmac_f32_e32 v53, 0xbf737871, v66
	s_delay_alu instid0(VALU_DEP_3) | instskip(NEXT) | instid1(VALU_DEP_3)
	v_dual_fmac_f32 v54, 0x3f167918, v67 :: v_dual_fmac_f32 v59, 0x3f167918, v65
	v_fmac_f32_e32 v60, 0x3e9e377a, v61
	s_delay_alu instid0(VALU_DEP_3) | instskip(NEXT) | instid1(VALU_DEP_3)
	v_fmac_f32_e32 v53, 0xbf167918, v65
	v_fmac_f32_e32 v54, 0x3e9e377a, v61
	v_sub_f32_e32 v65, v97, v93
	v_fmac_f32_e32 v59, 0x3e9e377a, v55
	s_delay_alu instid0(VALU_DEP_4)
	v_fmac_f32_e32 v53, 0x3e9e377a, v55
	ds_store_2addr_b64 v99, v[57:58], v[59:60] offset1:9
	v_mul_f32_e32 v57, v122, v71
	v_mul_f32_e32 v58, v121, v71
	ds_store_b64 v99, v[53:54] offset:288
	v_add_f32_e32 v53, v97, v93
	v_fma_f32 v57, v121, v70, -v57
	v_fmac_f32_e32 v58, v122, v70
	s_delay_alu instid0(VALU_DEP_3) | instskip(SKIP_1) | instid1(VALU_DEP_3)
	v_fma_f32 v142, -0.5, v53, v140
	v_sub_f32_e32 v53, v64, v97
	v_dual_sub_f32 v54, v57, v93 :: v_dual_sub_f32 v61, v95, v58
	v_dual_sub_f32 v60, v58, v98 :: v_dual_sub_f32 v63, v64, v57
	s_delay_alu instid0(VALU_DEP_2) | instskip(NEXT) | instid1(VALU_DEP_3)
	v_add_f32_e32 v55, v53, v54
	v_dual_add_f32 v53, v92, v98 :: v_dual_fmamk_f32 v128, v61, 0x3f737871, v142
	v_fmac_f32_e32 v142, 0xbf737871, v61
	v_dual_add_f32 v54, v141, v95 :: v_dual_sub_f32 v59, v95, v92
	s_delay_alu instid0(VALU_DEP_3) | instskip(NEXT) | instid1(VALU_DEP_4)
	v_fma_f32 v143, -0.5, v53, v141
	v_dual_add_f32 v53, v140, v64 :: v_dual_fmac_f32 v128, 0x3f167918, v62
	s_delay_alu instid0(VALU_DEP_3) | instskip(NEXT) | instid1(VALU_DEP_4)
	v_add_f32_e32 v54, v54, v92
	v_add_f32_e32 v59, v59, v60
	v_mad_u16 v60, v146, 45, v147
	s_delay_alu instid0(VALU_DEP_4) | instskip(NEXT) | instid1(VALU_DEP_4)
	v_add_f32_e32 v53, v53, v97
	v_dual_fmamk_f32 v129, v63, 0xbf737871, v143 :: v_dual_add_f32 v54, v54, v98
	v_fmac_f32_e32 v128, 0x3e9e377a, v55
	s_delay_alu instid0(VALU_DEP_3) | instskip(NEXT) | instid1(VALU_DEP_3)
	v_dual_add_f32 v53, v53, v93 :: v_dual_and_b32 v60, 0xffff, v60
	v_dual_fmac_f32 v129, 0xbf167918, v65 :: v_dual_add_f32 v54, v54, v58
	v_fmac_f32_e32 v142, 0xbf167918, v62
	s_delay_alu instid0(VALU_DEP_3) | instskip(NEXT) | instid1(VALU_DEP_3)
	v_dual_add_f32 v53, v53, v57 :: v_dual_lshlrev_b32 v60, 3, v60
	v_fmac_f32_e32 v129, 0x3e9e377a, v59
	v_fmac_f32_e32 v143, 0x3f737871, v63
	s_delay_alu instid0(VALU_DEP_4)
	v_fmac_f32_e32 v142, 0x3e9e377a, v55
	v_sub_f32_e32 v55, v92, v95
	s_clause 0x1
	scratch_store_b32 off, v99, off offset:240
	scratch_store_b32 off, v60, off offset:248
	ds_store_2addr_b64 v60, v[53:54], v[128:129] offset1:9
	v_add_f32_e32 v53, v64, v57
	v_dual_sub_f32 v54, v93, v57 :: v_dual_add_f32 v57, v95, v58
	v_dual_sub_f32 v58, v98, v58 :: v_dual_fmac_f32 v143, 0x3f167918, v65
	s_delay_alu instid0(VALU_DEP_3) | instskip(SKIP_1) | instid1(VALU_DEP_4)
	v_fma_f32 v140, -0.5, v53, v140
	v_sub_f32_e32 v53, v97, v64
	v_fmac_f32_e32 v141, -0.5, v57
	s_delay_alu instid0(VALU_DEP_4) | instskip(NEXT) | instid1(VALU_DEP_4)
	v_fmac_f32_e32 v143, 0x3e9e377a, v59
	v_fmamk_f32 v130, v62, 0xbf737871, v140
	s_delay_alu instid0(VALU_DEP_3) | instskip(SKIP_1) | instid1(VALU_DEP_3)
	v_dual_fmac_f32 v140, 0x3f737871, v62 :: v_dual_fmamk_f32 v131, v65, 0x3f737871, v141
	v_fmac_f32_e32 v141, 0xbf737871, v65
	v_dual_add_f32 v53, v53, v54 :: v_dual_fmac_f32 v130, 0x3f167918, v61
	s_delay_alu instid0(VALU_DEP_3) | instskip(NEXT) | instid1(VALU_DEP_4)
	v_fmac_f32_e32 v140, 0xbf167918, v61
	v_dual_add_f32 v54, v55, v58 :: v_dual_fmac_f32 v131, 0xbf167918, v63
	s_delay_alu instid0(VALU_DEP_4) | instskip(NEXT) | instid1(VALU_DEP_4)
	v_fmac_f32_e32 v141, 0x3f167918, v63
	v_fmac_f32_e32 v130, 0x3e9e377a, v53
	s_delay_alu instid0(VALU_DEP_4)
	v_fmac_f32_e32 v140, 0x3e9e377a, v53
	ds_store_b64 v60, v[142:143] offset:288
	v_fmac_f32_e32 v131, 0x3e9e377a, v54
	v_fmac_f32_e32 v141, 0x3e9e377a, v54
	ds_store_2addr_b64 v60, v[130:131], v[140:141] offset0:18 offset1:27
	global_wb scope:SCOPE_SE
	s_wait_storecnt_dscnt 0x0
	s_barrier_signal -1
	s_barrier_wait -1
	global_inv scope:SCOPE_SE
	ds_load_b64 v[152:153], v255 offset:11808
                                        ; implicit-def: $vgpr154
	ds_load_2addr_b64 v[92:95], v164 offset0:66 offset1:129
	ds_load_2addr_b64 v[144:147], v56 offset0:64 offset1:163
	ds_load_2addr_b64 v[104:107], v52 offset0:132 offset1:195
	ds_load_2addr_b64 v[100:103], v163 offset0:70 offset1:133
	ds_load_2addr_b64 v[148:151], v155 offset0:32 offset1:95
	ds_load_2addr_b64 v[120:123], v162 offset0:98 offset1:161
	ds_load_2addr_b64 v[58:61], v165 offset0:2 offset1:101
	ds_load_2addr_b64 v[54:57], v165 offset0:164 offset1:227
	ds_load_2addr_b64 v[136:139], v255 offset1:63
	ds_load_2addr_b64 v[132:135], v255 offset0:126 offset1:225
	s_and_saveexec_b32 s1, s0
	s_cbranch_execz .LBB0_13
; %bb.12:
	v_add_nc_u32_e32 v52, 0x500, v255
	v_add_nc_u32_e32 v53, 0x1380, v255
	v_add_nc_u32_e32 v62, 0x2200, v255
	ds_load_2addr_b64 v[128:131], v52 offset0:29 offset1:254
	ds_load_2addr_b64 v[140:143], v53 offset0:15 offset1:240
	;; [unrolled: 1-line block ×3, first 2 shown]
	ds_load_b64 v[154:155], v255 offset:12312
.LBB0_13:
	s_wait_alu 0xfffe
	s_or_b32 exec_lo, exec_lo, s1
	v_mul_lo_u16 v52, 0x6d, v96
	v_cmp_gt_u16_e64 s1, 45, v246
	s_delay_alu instid0(VALU_DEP_2) | instskip(NEXT) | instid1(VALU_DEP_1)
	v_lshrrev_b16 v52, 8, v52
	v_sub_nc_u16 v53, v159, v52
	s_delay_alu instid0(VALU_DEP_1) | instskip(NEXT) | instid1(VALU_DEP_1)
	v_lshrrev_b16 v53, 1, v53
	v_and_b32_e32 v53, 0x7f, v53
	s_delay_alu instid0(VALU_DEP_1) | instskip(SKIP_1) | instid1(VALU_DEP_2)
	v_add_nc_u16 v62, v53, v52
	v_subrev_nc_u32_e32 v52, 45, v246
	v_lshrrev_b16 v162, 5, v62
	s_wait_alu 0xf1ff
	s_delay_alu instid0(VALU_DEP_2) | instskip(NEXT) | instid1(VALU_DEP_2)
	v_cndmask_b32_e64 v164, v52, v246, s1
	v_mul_lo_u16 v62, v162, 45
	s_delay_alu instid0(VALU_DEP_2) | instskip(SKIP_1) | instid1(VALU_DEP_3)
	v_mul_i32_i24_e32 v52, 48, v164
	v_mul_hi_i32_i24_e32 v53, 48, v164
	v_sub_nc_u16 v62, v159, v62
	s_delay_alu instid0(VALU_DEP_3) | instskip(SKIP_1) | instid1(VALU_DEP_3)
	v_add_co_u32 v52, s1, s2, v52
	s_wait_alu 0xf1ff
	v_add_co_ci_u32_e64 v53, s1, s3, v53, s1
	s_delay_alu instid0(VALU_DEP_3)
	v_and_b32_e32 v163, 0xff, v62
	v_cmp_lt_u16_e64 s1, 44, v246
	s_clause 0x1
	global_load_b128 v[64:67], v[52:53], off offset:336
	global_load_b128 v[112:115], v[52:53], off offset:352
	s_wait_loadcnt_dscnt 0x109
	v_mul_f32_e32 v62, v93, v67
	s_wait_loadcnt_dscnt 0x7
	v_mul_f32_e32 v183, v104, v115
	s_delay_alu instid0(VALU_DEP_2)
	v_fma_f32 v178, v92, v66, -v62
	v_mad_co_u64_u32 v[62:63], null, v163, 48, s[2:3]
	s_clause 0x1
	global_load_b128 v[116:119], v[52:53], off offset:368
	global_load_b128 v[108:111], v[62:63], off offset:336
	s_wait_loadcnt 0x0
	v_dual_fmac_f32 v183, v105, v114 :: v_dual_mul_f32 v52, v95, v111
	v_mul_f32_e32 v168, v94, v111
	v_mul_f32_e32 v179, v92, v67
	s_wait_dscnt 0x5
	v_mul_f32_e32 v177, v148, v109
	v_fma_f32 v167, v94, v110, -v52
	v_fmac_f32_e32 v168, v95, v110
	v_fmac_f32_e32 v179, v93, v66
	s_clause 0x1
	global_load_b128 v[96:99], v[62:63], off offset:352
	global_load_b128 v[92:95], v[62:63], off offset:368
	v_mul_f32_e32 v52, v105, v115
	v_fmac_f32_e32 v177, v149, v108
	s_delay_alu instid0(VALU_DEP_2) | instskip(SKIP_2) | instid1(VALU_DEP_1)
	v_fma_f32 v182, v104, v114, -v52
	s_wait_loadcnt_dscnt 0x2
	v_dual_mul_f32 v52, v107, v99 :: v_dual_mul_f32 v187, v54, v93
	v_fma_f32 v171, v106, v98, -v52
	s_delay_alu instid0(VALU_DEP_2) | instskip(NEXT) | instid1(VALU_DEP_1)
	v_dual_mul_f32 v52, v101, v119 :: v_dual_fmac_f32 v187, v55, v92
	v_fma_f32 v184, v100, v118, -v52
	v_mul_f32_e32 v52, v103, v95
	s_delay_alu instid0(VALU_DEP_1) | instskip(SKIP_1) | instid1(VALU_DEP_1)
	v_fma_f32 v173, v102, v94, -v52
	v_mul_lo_u16 v52, 0x6d, v161
	v_lshrrev_b16 v52, 8, v52
	s_delay_alu instid0(VALU_DEP_1) | instskip(NEXT) | instid1(VALU_DEP_1)
	v_sub_nc_u16 v53, v158, v52
	v_lshrrev_b16 v53, 1, v53
	s_delay_alu instid0(VALU_DEP_1) | instskip(NEXT) | instid1(VALU_DEP_1)
	v_and_b32_e32 v53, 0x7f, v53
	v_add_nc_u16 v52, v53, v52
	s_delay_alu instid0(VALU_DEP_1) | instskip(NEXT) | instid1(VALU_DEP_1)
	v_lshrrev_b16 v161, 5, v52
	v_mul_lo_u16 v52, v161, 45
	s_delay_alu instid0(VALU_DEP_1) | instskip(NEXT) | instid1(VALU_DEP_1)
	v_sub_nc_u16 v52, v158, v52
	v_dual_mul_f32 v174, v102, v95 :: v_dual_and_b32 v165, 0xff, v52
	v_dual_mul_f32 v52, v149, v109 :: v_dual_mul_f32 v185, v100, v119
	s_delay_alu instid0(VALU_DEP_2) | instskip(SKIP_1) | instid1(VALU_DEP_3)
	v_fmac_f32_e32 v174, v103, v94
	v_mul_f32_e32 v172, v106, v99
	v_fma_f32 v176, v148, v108, -v52
	s_delay_alu instid0(VALU_DEP_4) | instskip(SKIP_1) | instid1(VALU_DEP_4)
	v_fmac_f32_e32 v185, v101, v118
	v_mad_co_u64_u32 v[52:53], null, v165, 48, s[2:3]
	v_fmac_f32_e32 v172, v107, v98
	s_clause 0x1
	global_load_b128 v[100:103], v[52:53], off offset:336
	global_load_b128 v[104:107], v[52:53], off offset:352
	v_mul_f32_e32 v191, v60, v117
	v_mul_f32_e32 v189, v146, v113
	v_add_f32_e32 v205, v177, v174
	v_add_f32_e32 v201, v176, v173
	s_delay_alu instid0(VALU_DEP_4) | instskip(SKIP_4) | instid1(VALU_DEP_1)
	v_fmac_f32_e32 v191, v61, v116
	s_wait_loadcnt 0x1
	v_mul_f32_e32 v149, v150, v101
	s_wait_loadcnt 0x0
	v_mul_f32_e32 v166, v122, v105
	v_dual_mul_f32 v181, v120, v97 :: v_dual_fmac_f32 v166, v123, v104
	s_delay_alu instid0(VALU_DEP_1) | instskip(SKIP_2) | instid1(VALU_DEP_2)
	v_dual_mul_f32 v62, v151, v101 :: v_dual_fmac_f32 v181, v121, v96
	s_wait_dscnt 0x0
	v_mul_f32_e32 v192, v134, v65
	v_fma_f32 v148, v150, v100, -v62
	s_delay_alu instid0(VALU_DEP_3) | instskip(SKIP_1) | instid1(VALU_DEP_2)
	v_dual_add_f32 v207, v181, v172 :: v_dual_mul_f32 v62, v147, v113
	v_dual_mul_f32 v150, v144, v103 :: v_dual_fmac_f32 v189, v147, v112
	v_fma_f32 v188, v146, v112, -v62
	s_delay_alu instid0(VALU_DEP_2) | instskip(SKIP_1) | instid1(VALU_DEP_4)
	v_fmac_f32_e32 v150, v145, v102
	v_dual_mul_f32 v62, v145, v103 :: v_dual_fmac_f32 v149, v151, v100
	v_add_f32_e32 v199, v189, v183
	s_delay_alu instid0(VALU_DEP_4) | instskip(NEXT) | instid1(VALU_DEP_3)
	v_add_f32_e32 v195, v188, v182
	v_fma_f32 v147, v144, v102, -v62
	v_mul_f32_e32 v62, v121, v97
	s_delay_alu instid0(VALU_DEP_1) | instskip(NEXT) | instid1(VALU_DEP_1)
	v_fma_f32 v180, v120, v96, -v62
	v_dual_mul_f32 v62, v123, v105 :: v_dual_add_f32 v203, v180, v171
	s_delay_alu instid0(VALU_DEP_1) | instskip(SKIP_4) | instid1(VALU_DEP_3)
	v_fma_f32 v151, v122, v104, -v62
	global_load_b128 v[120:123], v[52:53], off offset:368
	v_mul_f32_e32 v62, v61, v117
	v_mul_f32_e32 v170, v58, v107
	v_fmac_f32_e32 v192, v135, v64
	v_fma_f32 v190, v60, v116, -v62
	s_delay_alu instid0(VALU_DEP_2) | instskip(NEXT) | instid1(VALU_DEP_2)
	v_dual_mul_f32 v60, v59, v107 :: v_dual_add_f32 v197, v192, v185
	v_add_f32_e32 v194, v178, v190
	s_delay_alu instid0(VALU_DEP_2) | instskip(SKIP_2) | instid1(VALU_DEP_3)
	v_fma_f32 v169, v58, v106, -v60
	v_mul_lo_u16 v58, 0x6d, v160
	v_add_f32_e32 v206, v168, v187
	v_dual_sub_f32 v178, v178, v190 :: v_dual_add_f32 v209, v151, v169
	s_delay_alu instid0(VALU_DEP_3) | instskip(SKIP_2) | instid1(VALU_DEP_2)
	v_lshrrev_b16 v58, 8, v58
	s_wait_loadcnt 0x0
	v_dual_mul_f32 v175, v56, v121 :: v_dual_fmac_f32 v170, v59, v106
	v_sub_nc_u16 v59, v157, v58
	s_delay_alu instid0(VALU_DEP_2) | instskip(NEXT) | instid1(VALU_DEP_3)
	v_dual_fmac_f32 v175, v57, v120 :: v_dual_add_f32 v198, v179, v191
	v_add_f32_e32 v221, v166, v170
	s_delay_alu instid0(VALU_DEP_3) | instskip(SKIP_1) | instid1(VALU_DEP_4)
	v_lshrrev_b16 v59, 1, v59
	v_sub_f32_e32 v179, v179, v191
	v_add_f32_e32 v220, v150, v175
	s_delay_alu instid0(VALU_DEP_3) | instskip(NEXT) | instid1(VALU_DEP_1)
	v_and_b32_e32 v59, 0x7f, v59
	v_add_nc_u16 v58, v59, v58
	s_delay_alu instid0(VALU_DEP_1) | instskip(NEXT) | instid1(VALU_DEP_1)
	v_lshrrev_b16 v58, 5, v58
	v_mul_lo_u16 v58, v58, 45
	s_delay_alu instid0(VALU_DEP_1) | instskip(NEXT) | instid1(VALU_DEP_1)
	v_sub_nc_u16 v58, v157, v58
	v_dual_mul_f32 v58, v55, v93 :: v_dual_and_b32 v59, 0xff, v58
	s_delay_alu instid0(VALU_DEP_1) | instskip(NEXT) | instid1(VALU_DEP_2)
	v_mad_co_u64_u32 v[60:61], null, v59, 48, s[2:3]
	v_fma_f32 v186, v54, v92, -v58
	v_mul_f32_e32 v58, v57, v121
	scratch_store_b32 off, v59, off offset:244 ; 4-byte Folded Spill
	global_load_b128 v[52:55], v[60:61], off offset:336
	v_fma_f32 v160, v56, v120, -v58
	s_wait_loadcnt 0x0
	v_mul_f32_e32 v56, v141, v55
	v_mul_f32_e32 v224, v130, v53
	s_delay_alu instid0(VALU_DEP_2)
	v_fma_f32 v144, v140, v54, -v56
	s_clause 0x1
	global_load_b128 v[56:59], v[60:61], off offset:352
	global_load_b128 v[60:63], v[60:61], off offset:368
	v_mul_f32_e32 v140, v140, v55
	v_fmac_f32_e32 v224, v131, v52
	global_wb scope:SCOPE_SE
	s_wait_loadcnt 0x0
	s_wait_storecnt 0x0
	s_barrier_signal -1
	s_barrier_wait -1
	v_fmac_f32_e32 v140, v141, v54
	global_inv scope:SCOPE_SE
	v_mul_f32_e32 v141, v143, v57
	v_mul_f32_e32 v145, v124, v59
	s_delay_alu instid0(VALU_DEP_2) | instskip(NEXT) | instid1(VALU_DEP_2)
	v_fma_f32 v141, v142, v56, -v141
	v_dual_mul_f32 v142, v142, v57 :: v_dual_fmac_f32 v145, v125, v58
	s_delay_alu instid0(VALU_DEP_1) | instskip(NEXT) | instid1(VALU_DEP_1)
	v_dual_fmac_f32 v142, v143, v56 :: v_dual_mul_f32 v143, v125, v59
	v_add_f32_e32 v233, v142, v145
	s_delay_alu instid0(VALU_DEP_2) | instskip(SKIP_1) | instid1(VALU_DEP_2)
	v_fma_f32 v143, v124, v58, -v143
	v_mul_f32_e32 v124, v127, v61
	v_add_f32_e32 v226, v141, v143
	s_delay_alu instid0(VALU_DEP_2) | instskip(SKIP_3) | instid1(VALU_DEP_3)
	v_fma_f32 v146, v126, v60, -v124
	v_mul_f32_e32 v126, v126, v61
	v_mul_f32_e32 v124, v135, v65
	v_add_f32_e32 v202, v167, v186
	v_dual_add_f32 v225, v144, v146 :: v_dual_fmac_f32 v126, v127, v60
	s_delay_alu instid0(VALU_DEP_3) | instskip(NEXT) | instid1(VALU_DEP_1)
	v_fma_f32 v127, v134, v64, -v124
	v_add_f32_e32 v193, v127, v184
	s_delay_alu instid0(VALU_DEP_1) | instskip(NEXT) | instid1(VALU_DEP_1)
	v_add_f32_e32 v124, v194, v193
	v_add_f32_e32 v196, v195, v124
	;; [unrolled: 1-line block ×3, first 2 shown]
	s_delay_alu instid0(VALU_DEP_1) | instskip(NEXT) | instid1(VALU_DEP_1)
	v_add_f32_e32 v200, v199, v124
	v_dual_add_f32 v124, v202, v201 :: v_dual_add_f32 v135, v137, v200
	s_delay_alu instid0(VALU_DEP_1) | instskip(SKIP_3) | instid1(VALU_DEP_3)
	v_add_f32_e32 v204, v203, v124
	v_add_f32_e32 v124, v206, v205
	;; [unrolled: 1-line block ×3, first 2 shown]
	v_sub_f32_e32 v126, v140, v126
	v_add_f32_e32 v208, v207, v124
	s_delay_alu instid0(VALU_DEP_1) | instskip(SKIP_1) | instid1(VALU_DEP_1)
	v_dual_mul_f32 v124, v153, v123 :: v_dual_add_f32 v137, v139, v208
	v_mul_f32_e32 v139, v152, v123
	v_dual_fmac_f32 v139, v153, v122 :: v_dual_add_f32 v134, v136, v196
	v_add_f32_e32 v136, v138, v204
	s_delay_alu instid0(VALU_DEP_4) | instskip(SKIP_1) | instid1(VALU_DEP_2)
	v_fma_f32 v138, v152, v122, -v124
	v_add_f32_e32 v153, v147, v160
	v_dual_add_f32 v211, v149, v139 :: v_dual_add_f32 v152, v148, v138
	s_delay_alu instid0(VALU_DEP_1) | instskip(NEXT) | instid1(VALU_DEP_1)
	v_add_f32_e32 v124, v153, v152
	v_add_f32_e32 v210, v209, v124
	s_delay_alu instid0(VALU_DEP_3) | instskip(NEXT) | instid1(VALU_DEP_1)
	v_add_f32_e32 v124, v220, v211
	v_add_f32_e32 v222, v221, v124
	v_mul_f32_e32 v124, v155, v63
	s_delay_alu instid0(VALU_DEP_1) | instskip(SKIP_2) | instid1(VALU_DEP_2)
	v_fma_f32 v223, v154, v62, -v124
	v_mul_f32_e32 v154, v154, v63
	v_mul_f32_e32 v124, v131, v53
	v_fmac_f32_e32 v154, v155, v62
	s_delay_alu instid0(VALU_DEP_2) | instskip(SKIP_2) | instid1(VALU_DEP_4)
	v_fma_f32 v155, v130, v52, -v124
	v_sub_f32_e32 v130, v127, v184
	v_dual_sub_f32 v184, v199, v198 :: v_dual_sub_f32 v127, v193, v195
	v_add_f32_e32 v231, v224, v154
	s_delay_alu instid0(VALU_DEP_4) | instskip(NEXT) | instid1(VALU_DEP_1)
	v_add_f32_e32 v131, v155, v223
	v_add_f32_e32 v124, v225, v131
	s_delay_alu instid0(VALU_DEP_1) | instskip(NEXT) | instid1(VALU_DEP_1)
	v_dual_add_f32 v227, v226, v124 :: v_dual_add_f32 v124, v232, v231
	v_add_f32_e32 v234, v233, v124
	s_delay_alu instid0(VALU_DEP_2) | instskip(SKIP_2) | instid1(VALU_DEP_3)
	v_add_f32_e32 v124, v128, v227
	s_wait_alu 0xf1ff
	v_cndmask_b32_e64 v128, 0, 0x13b, s1
	v_add_f32_e32 v125, v129, v234
	v_sub_f32_e32 v129, v183, v189
	s_delay_alu instid0(VALU_DEP_3)
	v_add_lshl_u32 v228, v164, v128, 3
	v_sub_f32_e32 v128, v182, v188
	v_sub_f32_e32 v164, v192, v185
	;; [unrolled: 1-line block ×5, first 2 shown]
	v_add_f32_e32 v185, v128, v178
	v_dual_sub_f32 v188, v128, v178 :: v_dual_sub_f32 v189, v130, v128
	v_dual_add_f32 v128, v129, v179 :: v_dual_sub_f32 v129, v164, v129
	v_add_f32_e32 v132, v132, v210
	v_mul_f32_e32 v192, 0x3f4a47b2, v127
	s_delay_alu instid0(VALU_DEP_4)
	v_mul_f32_e32 v188, 0xbf08b237, v188
	v_mul_f32_e32 v183, 0x3f4a47b2, v183
	;; [unrolled: 1-line block ×3, first 2 shown]
	v_fmamk_f32 v195, v196, 0xbf955555, v134
	v_fmamk_f32 v127, v182, 0x3d64c772, v192
	v_add_f32_e32 v185, v185, v130
	v_add_f32_e32 v191, v128, v164
	v_fmamk_f32 v196, v200, 0xbf955555, v135
	v_fmamk_f32 v199, v189, 0x3eae86e6, v188
	v_dual_fmamk_f32 v200, v129, 0x3eae86e6, v190 :: v_dual_add_f32 v229, v127, v195
	v_dual_fmamk_f32 v127, v184, 0x3d64c772, v183 :: v_dual_sub_f32 v130, v178, v130
	s_delay_alu instid0(VALU_DEP_2) | instskip(NEXT) | instid1(VALU_DEP_2)
	v_dual_fmac_f32 v199, 0x3ee1c552, v185 :: v_dual_fmac_f32 v200, 0x3ee1c552, v191
	v_dual_add_f32 v133, v133, v222 :: v_dual_add_f32 v230, v127, v196
	s_delay_alu instid0(VALU_DEP_1) | instskip(SKIP_3) | instid1(VALU_DEP_1)
	v_dual_add_f32 v127, v200, v229 :: v_dual_sub_f32 v128, v230, v199
	ds_store_2addr_b64 v228, v[134:135], v[127:128] offset1:45
	v_sub_f32_e32 v127, v194, v193
	v_dual_mul_f32 v135, 0x3d64c772, v182 :: v_dual_sub_f32 v128, v198, v197
	v_fma_f32 v135, 0x3f3bfb3b, v127, -v135
	v_fma_f32 v127, 0xbf3bfb3b, v127, -v192
	s_delay_alu instid0(VALU_DEP_2) | instskip(SKIP_4) | instid1(VALU_DEP_4)
	v_add_f32_e32 v135, v135, v195
	v_sub_f32_e32 v134, v179, v164
	v_fma_f32 v164, 0x3f5ff5aa, v130, -v188
	v_mul_f32_e32 v130, 0x3f5ff5aa, v130
	v_add_f32_e32 v182, v127, v195
	v_fma_f32 v179, 0x3f5ff5aa, v134, -v190
	s_delay_alu instid0(VALU_DEP_4) | instskip(NEXT) | instid1(VALU_DEP_4)
	v_fmac_f32_e32 v164, 0x3ee1c552, v185
	v_fma_f32 v178, 0xbeae86e6, v189, -v130
	v_mul_f32_e32 v130, 0x3f5ff5aa, v134
	s_delay_alu instid0(VALU_DEP_2) | instskip(NEXT) | instid1(VALU_DEP_2)
	v_dual_fmac_f32 v179, 0x3ee1c552, v191 :: v_dual_fmac_f32 v178, 0x3ee1c552, v185
	v_fma_f32 v134, 0xbeae86e6, v129, -v130
	v_mul_f32_e32 v129, 0x3d64c772, v184
	s_delay_alu instid0(VALU_DEP_2) | instskip(NEXT) | instid1(VALU_DEP_2)
	v_fmac_f32_e32 v134, 0x3ee1c552, v191
	v_fma_f32 v129, 0x3f3bfb3b, v128, -v129
	v_fma_f32 v128, 0xbf3bfb3b, v128, -v183
	s_delay_alu instid0(VALU_DEP_2) | instskip(NEXT) | instid1(VALU_DEP_2)
	v_dual_add_f32 v127, v134, v182 :: v_dual_add_f32 v184, v129, v196
	v_add_f32_e32 v183, v128, v196
	s_delay_alu instid0(VALU_DEP_2) | instskip(NEXT) | instid1(VALU_DEP_2)
	v_dual_sub_f32 v129, v135, v179 :: v_dual_add_f32 v130, v164, v184
	v_sub_f32_e32 v128, v183, v178
	ds_store_2addr_b64 v228, v[127:128], v[129:130] offset0:90 offset1:135
	v_dual_add_f32 v127, v179, v135 :: v_dual_sub_f32 v128, v184, v164
	v_sub_f32_e32 v129, v182, v134
	v_add_f32_e32 v130, v178, v183
	v_sub_f32_e32 v134, v167, v186
	v_sub_f32_e32 v167, v207, v206
	;; [unrolled: 1-line block ×4, first 2 shown]
	ds_store_2addr_b64 v228, v[127:128], v[129:130] offset0:180 offset1:225
	v_dual_sub_f32 v127, v229, v200 :: v_dual_add_f32 v128, v199, v230
	v_dual_sub_f32 v129, v176, v173 :: v_dual_sub_f32 v130, v177, v174
	v_mul_f32_e32 v164, 0x3f4a47b2, v164
	v_fmamk_f32 v177, v204, 0xbf955555, v136
	ds_store_b64 v228, v[127:128] offset:2160
	v_dual_sub_f32 v128, v172, v181 :: v_dual_and_b32 v127, 0xffff, v162
	v_sub_f32_e32 v162, v201, v203
	v_fmamk_f32 v178, v208, 0xbf955555, v137
	s_delay_alu instid0(VALU_DEP_3) | instskip(NEXT) | instid1(VALU_DEP_3)
	v_mul_u32_u24_e32 v127, 0x13b, v127
	v_dual_sub_f32 v173, v128, v135 :: v_dual_mul_f32 v162, 0x3f4a47b2, v162
	v_sub_f32_e32 v174, v130, v128
	s_delay_alu instid0(VALU_DEP_3) | instskip(SKIP_2) | instid1(VALU_DEP_2)
	v_add_lshl_u32 v229, v127, v163, 3
	v_sub_f32_e32 v127, v171, v180
	v_sub_f32_e32 v163, v203, v202
	v_dual_mul_f32 v173, 0xbf08b237, v173 :: v_dual_add_f32 v168, v127, v134
	v_dual_sub_f32 v171, v127, v134 :: v_dual_sub_f32 v172, v129, v127
	s_delay_alu instid0(VALU_DEP_2) | instskip(NEXT) | instid1(VALU_DEP_2)
	v_dual_add_f32 v127, v128, v135 :: v_dual_fmamk_f32 v180, v174, 0x3eae86e6, v173
	v_dual_add_f32 v168, v168, v129 :: v_dual_mul_f32 v171, 0xbf08b237, v171
	s_delay_alu instid0(VALU_DEP_2) | instskip(SKIP_1) | instid1(VALU_DEP_3)
	v_dual_sub_f32 v129, v134, v129 :: v_dual_add_f32 v176, v127, v130
	v_dual_fmamk_f32 v127, v163, 0x3d64c772, v162 :: v_dual_mul_f32 v134, 0x3d64c772, v163
	v_fmamk_f32 v179, v172, 0x3eae86e6, v171
	s_delay_alu instid0(VALU_DEP_2) | instskip(SKIP_1) | instid1(VALU_DEP_1)
	v_dual_fmac_f32 v180, 0x3ee1c552, v176 :: v_dual_add_f32 v181, v127, v177
	v_fmamk_f32 v127, v167, 0x3d64c772, v164
	v_dual_fmac_f32 v179, 0x3ee1c552, v168 :: v_dual_add_f32 v182, v127, v178
	s_delay_alu instid0(VALU_DEP_1) | instskip(SKIP_3) | instid1(VALU_DEP_2)
	v_dual_add_f32 v127, v180, v181 :: v_dual_sub_f32 v128, v182, v179
	ds_store_2addr_b64 v229, v[136:137], v[127:128] offset1:45
	v_sub_f32_e32 v127, v202, v201
	v_sub_f32_e32 v128, v206, v205
	v_fma_f32 v134, 0x3f3bfb3b, v127, -v134
	v_fma_f32 v127, 0xbf3bfb3b, v127, -v162
	s_delay_alu instid0(VALU_DEP_2) | instskip(NEXT) | instid1(VALU_DEP_2)
	v_add_f32_e32 v134, v134, v177
	v_add_f32_e32 v163, v127, v177
	v_sub_f32_e32 v130, v135, v130
	v_fma_f32 v135, 0x3f5ff5aa, v129, -v171
	v_mul_f32_e32 v129, 0x3f5ff5aa, v129
	s_delay_alu instid0(VALU_DEP_3) | instskip(NEXT) | instid1(VALU_DEP_3)
	v_fma_f32 v137, 0x3f5ff5aa, v130, -v173
	v_fmac_f32_e32 v135, 0x3ee1c552, v168
	s_delay_alu instid0(VALU_DEP_3) | instskip(SKIP_1) | instid1(VALU_DEP_4)
	v_fma_f32 v136, 0xbeae86e6, v172, -v129
	v_mul_f32_e32 v129, 0x3f5ff5aa, v130
	v_fmac_f32_e32 v137, 0x3ee1c552, v176
	s_delay_alu instid0(VALU_DEP_3) | instskip(NEXT) | instid1(VALU_DEP_3)
	v_fmac_f32_e32 v136, 0x3ee1c552, v168
	v_fma_f32 v162, 0xbeae86e6, v174, -v129
	v_mul_f32_e32 v129, 0x3d64c772, v167
	s_delay_alu instid0(VALU_DEP_2) | instskip(NEXT) | instid1(VALU_DEP_2)
	v_fmac_f32_e32 v162, 0x3ee1c552, v176
	v_fma_f32 v129, 0x3f3bfb3b, v128, -v129
	v_fma_f32 v128, 0xbf3bfb3b, v128, -v164
	s_delay_alu instid0(VALU_DEP_3) | instskip(NEXT) | instid1(VALU_DEP_3)
	v_add_f32_e32 v127, v162, v163
	v_add_f32_e32 v167, v129, v178
	s_delay_alu instid0(VALU_DEP_3) | instskip(NEXT) | instid1(VALU_DEP_2)
	v_dual_add_f32 v164, v128, v178 :: v_dual_sub_f32 v129, v134, v137
	v_add_f32_e32 v130, v135, v167
	s_delay_alu instid0(VALU_DEP_2)
	v_sub_f32_e32 v128, v164, v136
	ds_store_2addr_b64 v229, v[127:128], v[129:130] offset0:90 offset1:135
	v_dual_add_f32 v127, v137, v134 :: v_dual_sub_f32 v128, v167, v135
	v_sub_f32_e32 v129, v163, v162
	v_sub_f32_e32 v134, v147, v160
	v_dual_add_f32 v130, v136, v164 :: v_dual_sub_f32 v135, v150, v175
	v_sub_f32_e32 v137, v209, v153
	ds_store_2addr_b64 v229, v[127:128], v[129:130] offset0:180 offset1:225
	v_dual_sub_f32 v127, v181, v180 :: v_dual_add_f32 v128, v179, v182
	v_dual_sub_f32 v129, v148, v138 :: v_dual_sub_f32 v130, v149, v139
	v_sub_f32_e32 v139, v221, v220
	ds_store_b64 v229, v[127:128] offset:2160
	v_dual_sub_f32 v128, v170, v166 :: v_dual_and_b32 v127, 0xffff, v161
	v_fmamk_f32 v161, v210, 0xbf955555, v132
	s_delay_alu instid0(VALU_DEP_2) | instskip(NEXT) | instid1(VALU_DEP_3)
	v_mul_u32_u24_e32 v127, 0x13b, v127
	v_sub_f32_e32 v150, v128, v135
	s_delay_alu instid0(VALU_DEP_2) | instskip(SKIP_1) | instid1(VALU_DEP_3)
	v_add_lshl_u32 v230, v127, v165, 3
	v_sub_f32_e32 v127, v169, v151
	v_dual_sub_f32 v151, v130, v128 :: v_dual_mul_f32 v150, 0xbf08b237, v150
	s_delay_alu instid0(VALU_DEP_2) | instskip(SKIP_1) | instid1(VALU_DEP_3)
	v_add_f32_e32 v147, v127, v134
	v_dual_sub_f32 v148, v127, v134 :: v_dual_sub_f32 v149, v129, v127
	v_dual_add_f32 v127, v128, v135 :: v_dual_fmamk_f32 v164, v151, 0x3eae86e6, v150
	s_delay_alu instid0(VALU_DEP_3) | instskip(SKIP_1) | instid1(VALU_DEP_4)
	v_add_f32_e32 v147, v147, v129
	v_sub_f32_e32 v136, v152, v209
	v_mul_f32_e32 v148, 0xbf08b237, v148
	s_delay_alu instid0(VALU_DEP_4) | instskip(SKIP_1) | instid1(VALU_DEP_4)
	v_add_f32_e32 v160, v127, v130
	v_dual_sub_f32 v130, v135, v130 :: v_dual_sub_f32 v129, v134, v129
	v_mul_f32_e32 v136, 0x3f4a47b2, v136
	s_delay_alu instid0(VALU_DEP_4) | instskip(NEXT) | instid1(VALU_DEP_4)
	v_fmamk_f32 v163, v149, 0x3eae86e6, v148
	v_fmac_f32_e32 v164, 0x3ee1c552, v160
	s_delay_alu instid0(VALU_DEP_4) | instskip(NEXT) | instid1(VALU_DEP_4)
	v_fma_f32 v135, 0x3f5ff5aa, v130, -v150
	v_fmamk_f32 v127, v137, 0x3d64c772, v136
	s_delay_alu instid0(VALU_DEP_4) | instskip(NEXT) | instid1(VALU_DEP_3)
	v_fmac_f32_e32 v163, 0x3ee1c552, v147
	v_fmac_f32_e32 v135, 0x3ee1c552, v160
	s_delay_alu instid0(VALU_DEP_3) | instskip(SKIP_1) | instid1(VALU_DEP_1)
	v_dual_add_f32 v165, v127, v161 :: v_dual_fmamk_f32 v162, v222, 0xbf955555, v133
	v_sub_f32_e32 v138, v211, v221
	v_mul_f32_e32 v138, 0x3f4a47b2, v138
	s_delay_alu instid0(VALU_DEP_1) | instskip(NEXT) | instid1(VALU_DEP_1)
	v_fmamk_f32 v127, v139, 0x3d64c772, v138
	v_dual_add_f32 v166, v127, v162 :: v_dual_add_f32 v127, v164, v165
	s_delay_alu instid0(VALU_DEP_1)
	v_sub_f32_e32 v128, v166, v163
	ds_store_2addr_b64 v230, v[132:133], v[127:128] offset1:45
	v_fma_f32 v133, 0x3f5ff5aa, v129, -v148
	v_mul_f32_e32 v129, 0x3f5ff5aa, v129
	v_dual_sub_f32 v127, v153, v152 :: v_dual_mul_f32 v132, 0x3d64c772, v137
	v_sub_f32_e32 v128, v220, v211
	s_delay_alu instid0(VALU_DEP_4) | instskip(NEXT) | instid1(VALU_DEP_4)
	v_fmac_f32_e32 v133, 0x3ee1c552, v147
	v_fma_f32 v134, 0xbeae86e6, v149, -v129
	v_mul_f32_e32 v129, 0x3f5ff5aa, v130
	v_fma_f32 v132, 0x3f3bfb3b, v127, -v132
	v_fma_f32 v127, 0xbf3bfb3b, v127, -v136
	s_delay_alu instid0(VALU_DEP_4) | instskip(NEXT) | instid1(VALU_DEP_4)
	v_fmac_f32_e32 v134, 0x3ee1c552, v147
	v_fma_f32 v136, 0xbeae86e6, v151, -v129
	s_delay_alu instid0(VALU_DEP_4) | instskip(NEXT) | instid1(VALU_DEP_4)
	v_dual_mul_f32 v129, 0x3d64c772, v139 :: v_dual_add_f32 v132, v132, v161
	v_add_f32_e32 v137, v127, v161
	s_delay_alu instid0(VALU_DEP_2) | instskip(SKIP_1) | instid1(VALU_DEP_2)
	v_fma_f32 v129, 0x3f3bfb3b, v128, -v129
	v_fma_f32 v128, 0xbf3bfb3b, v128, -v138
	v_add_f32_e32 v139, v129, v162
	s_delay_alu instid0(VALU_DEP_2) | instskip(SKIP_1) | instid1(VALU_DEP_3)
	v_add_f32_e32 v138, v128, v162
	v_dual_sub_f32 v129, v132, v135 :: v_dual_fmac_f32 v136, 0x3ee1c552, v160
	v_add_f32_e32 v130, v133, v139
	s_delay_alu instid0(VALU_DEP_2)
	v_dual_sub_f32 v128, v138, v134 :: v_dual_add_f32 v127, v136, v137
	ds_store_2addr_b64 v230, v[127:128], v[129:130] offset0:90 offset1:135
	v_add_f32_e32 v127, v135, v132
	v_dual_sub_f32 v129, v137, v136 :: v_dual_add_f32 v130, v134, v138
	v_dual_sub_f32 v137, v233, v232 :: v_dual_sub_f32 v128, v139, v133
	v_sub_f32_e32 v133, v225, v131
	v_sub_f32_e32 v131, v131, v226
	v_dual_sub_f32 v135, v232, v231 :: v_dual_sub_f32 v132, v145, v142
	ds_store_2addr_b64 v230, v[127:128], v[129:130] offset0:180 offset1:225
	v_dual_sub_f32 v127, v165, v164 :: v_dual_add_f32 v128, v163, v166
	v_dual_sub_f32 v129, v144, v146 :: v_dual_sub_f32 v130, v143, v141
	v_sub_f32_e32 v136, v231, v233
	v_sub_f32_e32 v140, v132, v126
	ds_store_b64 v230, v[127:128] offset:2160
	v_dual_sub_f32 v127, v155, v223 :: v_dual_add_f32 v138, v130, v129
	v_dual_sub_f32 v128, v224, v154 :: v_dual_sub_f32 v139, v130, v129
	s_delay_alu instid0(VALU_DEP_2) | instskip(NEXT) | instid1(VALU_DEP_3)
	v_dual_sub_f32 v130, v127, v130 :: v_dual_sub_f32 v129, v129, v127
	v_add_f32_e32 v138, v138, v127
	v_dual_sub_f32 v134, v226, v225 :: v_dual_add_f32 v127, v132, v126
	s_delay_alu instid0(VALU_DEP_4) | instskip(NEXT) | instid1(VALU_DEP_2)
	v_dual_sub_f32 v141, v126, v128 :: v_dual_mul_f32 v126, 0x3f4a47b2, v131
	v_dual_add_f32 v142, v127, v128 :: v_dual_mul_f32 v127, 0x3d64c772, v134
	s_delay_alu instid0(VALU_DEP_1) | instskip(SKIP_1) | instid1(VALU_DEP_4)
	v_fma_f32 v144, 0x3f3bfb3b, v133, -v127
	v_mul_f32_e32 v127, 0x3d64c772, v137
	v_fma_f32 v133, 0xbf3bfb3b, v133, -v126
	s_delay_alu instid0(VALU_DEP_2) | instskip(SKIP_1) | instid1(VALU_DEP_1)
	v_fma_f32 v145, 0x3f3bfb3b, v135, -v127
	v_mul_f32_e32 v127, 0x3f5ff5aa, v129
	v_fma_f32 v127, 0xbeae86e6, v130, -v127
	s_delay_alu instid0(VALU_DEP_1) | instskip(SKIP_2) | instid1(VALU_DEP_1)
	v_fmac_f32_e32 v127, 0x3ee1c552, v138
	v_fmamk_f32 v143, v134, 0x3d64c772, v126
	v_mul_f32_e32 v126, 0x3f4a47b2, v136
	v_fmamk_f32 v137, v137, 0x3d64c772, v126
	v_fma_f32 v135, 0xbf3bfb3b, v135, -v126
	v_mul_f32_e32 v126, 0xbf08b237, v139
	v_fmamk_f32 v139, v234, 0xbf955555, v125
	s_delay_alu instid0(VALU_DEP_2) | instskip(SKIP_1) | instid1(VALU_DEP_3)
	v_fma_f32 v131, 0x3f5ff5aa, v129, -v126
	v_mul_f32_e32 v129, 0x3f5ff5aa, v141
	v_dual_add_f32 v135, v135, v139 :: v_dual_sub_f32 v132, v128, v132
	v_mul_f32_e32 v128, 0xbf08b237, v140
	v_fmamk_f32 v126, v130, 0x3eae86e6, v126
	v_fmac_f32_e32 v131, 0x3ee1c552, v138
	s_delay_alu instid0(VALU_DEP_4)
	v_add_f32_e32 v225, v127, v135
	v_fma_f32 v130, 0xbeae86e6, v132, -v129
	v_fma_f32 v134, 0x3f5ff5aa, v141, -v128
	v_fmamk_f32 v128, v132, 0x3eae86e6, v128
	v_fmamk_f32 v132, v227, 0xbf955555, v124
	v_fmac_f32_e32 v126, 0x3ee1c552, v138
	v_fmac_f32_e32 v130, 0x3ee1c552, v142
	;; [unrolled: 1-line block ×3, first 2 shown]
	s_delay_alu instid0(VALU_DEP_4)
	v_dual_fmac_f32 v128, 0x3ee1c552, v142 :: v_dual_add_f32 v129, v143, v132
	v_add_f32_e32 v136, v144, v132
	v_add_f32_e32 v132, v133, v132
	;; [unrolled: 1-line block ×4, first 2 shown]
	v_sub_f32_e32 v220, v129, v128
	v_add_f32_e32 v222, v134, v136
	s_delay_alu instid0(VALU_DEP_4) | instskip(NEXT) | instid1(VALU_DEP_4)
	v_dual_sub_f32 v224, v132, v130 :: v_dual_add_f32 v221, v126, v133
	v_sub_f32_e32 v223, v137, v131
	s_and_saveexec_b32 s1, s0
	s_cbranch_execz .LBB0_15
; %bb.14:
	v_dual_add_f32 v137, v131, v137 :: v_dual_sub_f32 v136, v136, v134
	scratch_load_b32 v131, off, off offset:244 ; 4-byte Folded Reload
	v_add_f32_e32 v130, v130, v132
	s_wait_loadcnt 0x0
	v_lshlrev_b32_e32 v134, 3, v131
	v_sub_f32_e32 v131, v135, v127
	v_dual_sub_f32 v127, v133, v126 :: v_dual_add_f32 v126, v128, v129
	s_delay_alu instid0(VALU_DEP_3)
	v_add_nc_u32_e32 v129, 0x2800, v134
	v_add_nc_u32_e32 v128, 0x2400, v134
	ds_store_2addr_b64 v128, v[124:125], v[126:127] offset0:108 offset1:153
	ds_store_2addr_b64 v129, v[130:131], v[136:137] offset0:70 offset1:115
	;; [unrolled: 1-line block ×3, first 2 shown]
	ds_store_b64 v134, v[220:221] offset:12240
.LBB0_15:
	s_wait_alu 0xfffe
	s_or_b32 exec_lo, exec_lo, s1
	v_lshlrev_b32_e32 v128, 5, v246
	v_lshlrev_b32_e32 v132, 5, v159
	global_wb scope:SCOPE_SE
	s_wait_dscnt 0x0
	s_barrier_signal -1
	s_barrier_wait -1
	global_inv scope:SCOPE_SE
	s_clause 0x3
	global_load_b128 v[136:139], v128, s[2:3] offset:2496
	global_load_b128 v[124:127], v132, s[2:3] offset:2496
	;; [unrolled: 1-line block ×4, first 2 shown]
	v_add_nc_u32_e32 v172, 0x1000, v255
	v_add_nc_u32_e32 v173, 0x2400, v255
	;; [unrolled: 1-line block ×3, first 2 shown]
	ds_load_2addr_b64 v[144:147], v172 offset0:118 offset1:181
	ds_load_2addr_b64 v[152:155], v173 offset0:108 offset1:171
	v_lshlrev_b32_e32 v158, 5, v158
	v_add_nc_u32_e32 v177, 0x1c00, v255
	v_add_nc_u32_e32 v175, 0x1800, v255
	ds_load_2addr_b64 v[168:171], v175 offset0:114 offset1:177
	v_add_nc_u32_e32 v176, 0x400, v255
	s_wait_loadcnt_dscnt 0x302
	v_mul_f32_e32 v150, v145, v139
	s_wait_loadcnt 0x2
	v_mul_f32_e32 v183, v146, v127
	global_load_b128 v[140:143], v158, s[2:3] offset:2496
	s_wait_loadcnt_dscnt 0x201
	v_mul_f32_e32 v160, v153, v131
	s_wait_loadcnt 0x1
	v_mul_f32_e32 v161, v155, v135
	v_mul_f32_e32 v184, v154, v135
	;; [unrolled: 1-line block ×3, first 2 shown]
	v_fma_f32 v151, v144, v138, -v150
	v_fma_f32 v150, v152, v130, -v160
	;; [unrolled: 1-line block ×3, first 2 shown]
	v_fmac_f32_e32 v184, v155, v134
	v_fmac_f32_e32 v149, v153, v130
	ds_load_2addr_b64 v[152:155], v174 offset0:122 offset1:185
	v_mul_f32_e32 v159, v147, v127
	v_fmac_f32_e32 v183, v147, v126
	s_delay_alu instid0(VALU_DEP_2) | instskip(SKIP_4) | instid1(VALU_DEP_3)
	v_fma_f32 v185, v146, v126, -v159
	s_wait_dscnt 0x0
	v_mul_f32_e32 v187, v152, v125
	v_mul_f32_e32 v148, v144, v139
	;; [unrolled: 1-line block ×3, first 2 shown]
	v_fmac_f32_e32 v187, v153, v124
	s_delay_alu instid0(VALU_DEP_3) | instskip(NEXT) | instid1(VALU_DEP_3)
	v_fmac_f32_e32 v148, v145, v138
	v_fma_f32 v188, v152, v124, -v144
	global_load_b128 v[144:147], v158, s[2:3] offset:2512
	v_sub_f32_e32 v241, v187, v184
	s_wait_loadcnt 0x1
	v_mul_f32_e32 v152, v155, v141
	v_mul_f32_e32 v179, v154, v141
	s_delay_alu instid0(VALU_DEP_2) | instskip(NEXT) | instid1(VALU_DEP_2)
	v_fma_f32 v180, v154, v140, -v152
	v_fmac_f32_e32 v179, v155, v140
	ds_load_2addr_b64 v[152:155], v177 offset0:112 offset1:175
	s_wait_dscnt 0x0
	v_mul_f32_e32 v158, v153, v133
	v_mul_f32_e32 v189, v152, v133
	s_delay_alu instid0(VALU_DEP_2) | instskip(NEXT) | instid1(VALU_DEP_2)
	v_fma_f32 v190, v152, v132, -v158
	v_fmac_f32_e32 v189, v153, v132
	v_mul_f32_e32 v153, v171, v129
	ds_load_2addr_b64 v[164:167], v176 offset0:124 offset1:187
	ds_load_2addr_b64 v[158:161], v255 offset1:63
	v_sub_f32_e32 v238, v185, v190
	s_wait_loadcnt 0x0
	v_mul_f32_e32 v152, v155, v145
	v_mul_f32_e32 v182, v154, v145
	v_fma_f32 v153, v170, v128, -v153
	v_sub_f32_e32 v237, v183, v189
	s_delay_alu instid0(VALU_DEP_4) | instskip(NEXT) | instid1(VALU_DEP_3)
	v_fma_f32 v181, v154, v144, -v152
	v_dual_fmac_f32 v182, v155, v144 :: v_dual_sub_f32 v191, v153, v150
	v_sub_f32_e32 v178, v150, v153
	s_wait_dscnt 0x1
	v_mul_f32_e32 v155, v166, v137
	v_mul_f32_e32 v152, v167, v137
	s_delay_alu instid0(VALU_DEP_2) | instskip(NEXT) | instid1(VALU_DEP_2)
	v_fmac_f32_e32 v155, v167, v136
	v_fma_f32 v152, v166, v136, -v152
	v_mul_f32_e32 v154, v170, v129
	v_add_f32_e32 v167, v151, v153
	s_wait_dscnt 0x0
	s_delay_alu instid0(VALU_DEP_3) | instskip(NEXT) | instid1(VALU_DEP_3)
	v_dual_add_f32 v163, v159, v155 :: v_dual_add_f32 v162, v158, v152
	v_dual_fmac_f32 v154, v171, v128 :: v_dual_sub_f32 v209, v152, v150
	v_dual_sub_f32 v166, v152, v151 :: v_dual_sub_f32 v171, v151, v153
	s_delay_alu instid0(VALU_DEP_3) | instskip(SKIP_2) | instid1(VALU_DEP_3)
	v_dual_add_f32 v162, v162, v151 :: v_dual_add_f32 v163, v163, v148
	v_sub_f32_e32 v151, v151, v152
	v_sub_f32_e32 v211, v155, v149
	v_dual_add_f32 v162, v162, v153 :: v_dual_add_f32 v163, v163, v154
	v_add_f32_e32 v170, v152, v150
	s_delay_alu instid0(VALU_DEP_4) | instskip(NEXT) | instid1(VALU_DEP_3)
	v_dual_sub_f32 v192, v149, v154 :: v_dual_add_f32 v231, v151, v191
	v_dual_add_f32 v152, v162, v150 :: v_dual_add_f32 v153, v163, v149
	v_dual_add_f32 v150, v148, v154 :: v_dual_add_f32 v163, v155, v149
	v_dual_sub_f32 v162, v155, v148 :: v_dual_sub_f32 v149, v154, v149
	v_sub_f32_e32 v210, v148, v154
	v_sub_f32_e32 v148, v148, v155
	v_fma_f32 v154, -0.5, v167, v158
	v_fma_f32 v155, -0.5, v150, v159
	;; [unrolled: 1-line block ×4, first 2 shown]
	s_delay_alu instid0(VALU_DEP_4) | instskip(NEXT) | instid1(VALU_DEP_4)
	v_dual_add_f32 v227, v162, v192 :: v_dual_fmamk_f32 v162, v211, 0x3f737871, v154
	v_fmamk_f32 v163, v209, 0xbf737871, v155
	v_fmac_f32_e32 v155, 0x3f737871, v209
	v_dual_add_f32 v232, v148, v149 :: v_dual_fmamk_f32 v207, v210, 0xbf737871, v158
	v_fmamk_f32 v208, v171, 0x3f737871, v159
	v_fmac_f32_e32 v158, 0x3f737871, v210
	v_fmac_f32_e32 v159, 0xbf737871, v171
	v_fmac_f32_e32 v154, 0xbf737871, v211
	v_dual_add_f32 v226, v166, v178 :: v_dual_fmac_f32 v163, 0xbf167918, v171
	v_dual_fmac_f32 v162, 0x3f167918, v210 :: v_dual_fmac_f32 v207, 0x3f167918, v211
	v_fmac_f32_e32 v208, 0xbf167918, v209
	v_fmac_f32_e32 v158, 0xbf167918, v211
	;; [unrolled: 1-line block ×5, first 2 shown]
	v_dual_fmac_f32 v162, 0x3e9e377a, v226 :: v_dual_fmac_f32 v163, 0x3e9e377a, v227
	v_dual_fmac_f32 v207, 0x3e9e377a, v231 :: v_dual_fmac_f32 v208, 0x3e9e377a, v232
	;; [unrolled: 1-line block ×3, first 2 shown]
	v_add_nc_u32_e32 v170, 0x1400, v255
	v_dual_fmac_f32 v154, 0x3e9e377a, v226 :: v_dual_fmac_f32 v155, 0x3e9e377a, v227
	v_add_nc_u32_e32 v178, 0x2800, v255
	v_add_nc_u32_e32 v167, 0xc00, v255
	;; [unrolled: 1-line block ×3, first 2 shown]
	ds_load_2addr_b64 v[191:194], v255 offset0:126 offset1:189
	ds_load_2addr_b64 v[148:151], v170 offset0:116 offset1:179
	;; [unrolled: 1-line block ×5, first 2 shown]
	ds_store_b64 v255, v[162:163] offset:2520
	ds_store_b64 v255, v[207:208] offset:5040
	ds_store_b64 v255, v[158:159] offset:7560
	ds_store_b64 v255, v[154:155] offset:10080
	v_dual_add_f32 v154, v160, v188 :: v_dual_add_f32 v155, v161, v187
	ds_load_b64 v[207:208], v255 offset:12096
	v_dual_add_f32 v154, v154, v185 :: v_dual_add_f32 v155, v155, v183
	s_delay_alu instid0(VALU_DEP_1)
	v_dual_add_f32 v154, v154, v190 :: v_dual_add_f32 v155, v155, v189
	s_wait_dscnt 0x8
	v_mul_f32_e32 v235, v148, v143
	s_wait_dscnt 0x7
	v_mul_f32_e32 v234, v195, v147
	v_dual_add_f32 v154, v154, v186 :: v_dual_add_f32 v155, v155, v184
	s_delay_alu instid0(VALU_DEP_3) | instskip(NEXT) | instid1(VALU_DEP_3)
	v_fmac_f32_e32 v235, v149, v142
	v_fmac_f32_e32 v234, v196, v146
	ds_store_2addr_b64 v255, v[152:153], v[154:155] offset1:63
	v_add_f32_e32 v152, v185, v190
	v_add_f32_e32 v153, v188, v186
	v_sub_f32_e32 v239, v235, v182
	s_delay_alu instid0(VALU_DEP_3) | instskip(NEXT) | instid1(VALU_DEP_3)
	v_fma_f32 v209, -0.5, v152, v160
	v_fma_f32 v160, -0.5, v153, v160
	v_dual_sub_f32 v152, v185, v188 :: v_dual_sub_f32 v153, v190, v186
	s_delay_alu instid0(VALU_DEP_1) | instskip(SKIP_1) | instid1(VALU_DEP_1)
	v_add_f32_e32 v171, v152, v153
	v_dual_add_f32 v152, v183, v189 :: v_dual_sub_f32 v153, v189, v184
	v_fma_f32 v210, -0.5, v152, v161
	v_add_f32_e32 v152, v187, v184
	s_delay_alu instid0(VALU_DEP_1) | instskip(SKIP_2) | instid1(VALU_DEP_2)
	v_dual_sub_f32 v184, v184, v189 :: v_dual_fmac_f32 v161, -0.5, v152
	v_sub_f32_e32 v152, v183, v187
	v_sub_f32_e32 v183, v187, v183
	v_dual_add_f32 v211, v152, v153 :: v_dual_mul_f32 v152, v149, v143
	v_sub_f32_e32 v242, v188, v186
	s_delay_alu instid0(VALU_DEP_2) | instskip(SKIP_2) | instid1(VALU_DEP_3)
	v_fma_f32 v231, v148, v142, -v152
	v_mul_f32_e32 v152, v196, v147
	v_sub_f32_e32 v148, v235, v179
	v_sub_f32_e32 v240, v231, v181
	s_delay_alu instid0(VALU_DEP_3) | instskip(SKIP_1) | instid1(VALU_DEP_2)
	v_fma_f32 v232, v195, v146, -v152
	v_dual_sub_f32 v152, v231, v180 :: v_dual_fmamk_f32 v195, v237, 0xbf737871, v160
	v_sub_f32_e32 v153, v181, v232
	v_sub_f32_e32 v244, v180, v232
	s_delay_alu instid0(VALU_DEP_2) | instskip(SKIP_1) | instid1(VALU_DEP_1)
	v_add_f32_e32 v233, v152, v153
	v_dual_add_f32 v153, v179, v234 :: v_dual_add_f32 v152, v180, v232
	v_fma_f32 v153, -0.5, v153, v192
	s_delay_alu instid0(VALU_DEP_2) | instskip(NEXT) | instid1(VALU_DEP_2)
	v_fma_f32 v152, -0.5, v152, v191
	v_dual_fmac_f32 v160, 0x3f737871, v237 :: v_dual_fmamk_f32 v227, v240, 0x3f737871, v153
	v_fmac_f32_e32 v153, 0xbf737871, v240
	s_delay_alu instid0(VALU_DEP_3) | instskip(SKIP_1) | instid1(VALU_DEP_2)
	v_dual_sub_f32 v149, v182, v234 :: v_dual_fmamk_f32 v226, v239, 0xbf737871, v152
	v_dual_fmac_f32 v152, 0x3f737871, v239 :: v_dual_sub_f32 v243, v179, v234
	v_dual_fmac_f32 v153, 0x3f167918, v244 :: v_dual_add_f32 v236, v148, v149
	v_fmamk_f32 v196, v238, 0x3f737871, v161
	v_fmac_f32_e32 v161, 0xbf737871, v238
	v_fmac_f32_e32 v160, 0xbf167918, v241
	;; [unrolled: 1-line block ×3, first 2 shown]
	v_dual_fmac_f32 v153, 0x3e9e377a, v236 :: v_dual_lshlrev_b32 v148, 5, v157
	s_delay_alu instid0(VALU_DEP_4) | instskip(NEXT) | instid1(VALU_DEP_4)
	v_fmac_f32_e32 v161, 0x3f167918, v242
	v_fmac_f32_e32 v160, 0x3e9e377a, v171
	s_delay_alu instid0(VALU_DEP_2)
	v_dual_fmac_f32 v152, 0x3e9e377a, v233 :: v_dual_fmac_f32 v161, 0x3e9e377a, v211
	v_fmac_f32_e32 v196, 0xbf167918, v242
	ds_store_2addr_b64 v177, v[160:161], v[152:153] offset0:112 offset1:175
	s_clause 0x1
	global_load_b128 v[160:163], v148, s[2:3] offset:2496
	global_load_b128 v[152:155], v148, s[2:3] offset:2512
	s_wait_loadcnt_dscnt 0x108
	v_dual_mul_f32 v148, v151, v163 :: v_dual_mul_f32 v149, v200, v161
	v_mul_f32_e32 v247, v150, v163
	v_fmac_f32_e32 v226, 0x3f167918, v243
	s_delay_alu instid0(VALU_DEP_3) | instskip(SKIP_1) | instid1(VALU_DEP_3)
	v_fma_f32 v245, v150, v162, -v148
	s_wait_loadcnt 0x0
	v_dual_mul_f32 v148, v198, v155 :: v_dual_fmac_f32 v247, v151, v162
	s_delay_alu instid0(VALU_DEP_3) | instskip(NEXT) | instid1(VALU_DEP_2)
	v_fmac_f32_e32 v226, 0x3e9e377a, v233
	v_fma_f32 v248, v197, v154, -v148
	v_dual_mul_f32 v197, v197, v155 :: v_dual_lshlrev_b32 v148, 5, v156
	s_delay_alu instid0(VALU_DEP_1)
	v_fmac_f32_e32 v197, v198, v154
	v_fma_f32 v198, v199, v160, -v149
	s_clause 0x1
	global_load_b128 v[156:159], v148, s[2:3] offset:2496
	global_load_b128 v[148:151], v148, s[2:3] offset:2512
	v_mul_f32_e32 v199, v199, v161
	v_fmac_f32_e32 v227, 0xbf167918, v244
	s_add_nc_u64 s[2:3], s[16:17], 0x3138
	s_delay_alu instid0(VALU_DEP_2) | instskip(NEXT) | instid1(VALU_DEP_2)
	v_fmac_f32_e32 v199, v200, v160
	v_fmac_f32_e32 v227, 0x3e9e377a, v236
	s_wait_loadcnt 0x1
	v_dual_mul_f32 v249, v168, v159 :: v_dual_mul_f32 v200, v202, v157
	s_delay_alu instid0(VALU_DEP_1) | instskip(NEXT) | instid1(VALU_DEP_2)
	v_fmac_f32_e32 v249, v169, v158
	v_fma_f32 v200, v201, v156, -v200
	v_mul_f32_e32 v201, v201, v157
	s_delay_alu instid0(VALU_DEP_1) | instskip(SKIP_1) | instid1(VALU_DEP_2)
	v_dual_fmac_f32 v201, v202, v156 :: v_dual_mul_f32 v202, v169, v159
	v_sub_f32_e32 v169, v186, v190
	v_fma_f32 v202, v168, v158, -v202
	s_wait_dscnt 0x7
	v_mul_f32_e32 v168, v204, v153
	s_delay_alu instid0(VALU_DEP_1) | instskip(SKIP_2) | instid1(VALU_DEP_1)
	v_fma_f32 v250, v203, v152, -v168
	v_mul_f32_e32 v203, v203, v153
	s_wait_loadcnt 0x0
	v_dual_mul_f32 v168, v206, v149 :: v_dual_fmac_f32 v203, v204, v152
	s_delay_alu instid0(VALU_DEP_1) | instskip(SKIP_3) | instid1(VALU_DEP_3)
	v_fma_f32 v204, v205, v148, -v168
	v_sub_f32_e32 v168, v188, v185
	v_dual_mul_f32 v205, v205, v149 :: v_dual_add_f32 v188, v183, v184
	v_dual_sub_f32 v183, v179, v235 :: v_dual_sub_f32 v184, v234, v182
	v_add_f32_e32 v187, v168, v169
	v_sub_f32_e32 v168, v180, v231
	v_sub_f32_e32 v169, v232, v181
	v_fmac_f32_e32 v205, v206, v148
	v_dual_add_f32 v190, v183, v184 :: v_dual_fmamk_f32 v183, v241, 0x3f737871, v209
	s_delay_alu instid0(VALU_DEP_3) | instskip(SKIP_2) | instid1(VALU_DEP_4)
	v_dual_fmamk_f32 v184, v242, 0xbf737871, v210 :: v_dual_add_f32 v189, v168, v169
	v_add_f32_e32 v168, v231, v181
	v_add_f32_e32 v169, v235, v182
	v_fmac_f32_e32 v183, 0x3f167918, v237
	s_delay_alu instid0(VALU_DEP_4) | instskip(NEXT) | instid1(VALU_DEP_4)
	v_fmac_f32_e32 v184, 0xbf167918, v238
	v_fma_f32 v168, -0.5, v168, v191
	s_delay_alu instid0(VALU_DEP_4)
	v_fma_f32 v169, -0.5, v169, v192
	v_fmac_f32_e32 v209, 0xbf737871, v241
	v_fmac_f32_e32 v210, 0x3f737871, v242
	v_dual_fmac_f32 v183, 0x3e9e377a, v187 :: v_dual_fmac_f32 v184, 0x3e9e377a, v188
	v_fmamk_f32 v185, v243, 0x3f737871, v168
	v_fmamk_f32 v186, v244, 0xbf737871, v169
	v_fmac_f32_e32 v168, 0xbf737871, v243
	v_fmac_f32_e32 v169, 0x3f737871, v244
	v_dual_fmac_f32 v195, 0x3f167918, v241 :: v_dual_fmac_f32 v210, 0x3f167918, v238
	s_delay_alu instid0(VALU_DEP_4) | instskip(NEXT) | instid1(VALU_DEP_4)
	v_dual_fmac_f32 v186, 0xbf167918, v240 :: v_dual_fmac_f32 v209, 0xbf167918, v237
	v_fmac_f32_e32 v168, 0xbf167918, v239
	s_delay_alu instid0(VALU_DEP_4) | instskip(NEXT) | instid1(VALU_DEP_4)
	v_fmac_f32_e32 v169, 0x3f167918, v240
	v_fmac_f32_e32 v210, 0x3e9e377a, v188
	s_delay_alu instid0(VALU_DEP_4) | instskip(NEXT) | instid1(VALU_DEP_3)
	v_dual_fmac_f32 v186, 0x3e9e377a, v190 :: v_dual_fmac_f32 v209, 0x3e9e377a, v187
	v_dual_fmac_f32 v168, 0x3e9e377a, v189 :: v_dual_fmac_f32 v169, 0x3e9e377a, v190
	v_fmac_f32_e32 v195, 0x3e9e377a, v171
	v_sub_f32_e32 v188, v247, v203
	v_add_f32_e32 v190, v199, v197
	ds_store_2addr_b64 v178, v[209:210], v[168:169] offset0:43 offset1:106
	v_dual_add_f32 v169, v192, v179 :: v_dual_add_f32 v168, v191, v180
	v_add_f32_e32 v179, v194, v199
	v_fmac_f32_e32 v196, 0x3e9e377a, v211
	s_delay_alu instid0(VALU_DEP_3) | instskip(NEXT) | instid1(VALU_DEP_4)
	v_dual_sub_f32 v192, v203, v197 :: v_dual_add_f32 v169, v169, v235
	v_add_f32_e32 v168, v168, v231
	v_fmac_f32_e32 v185, 0x3f167918, v239
	v_add_f32_e32 v179, v179, v247
	ds_store_2addr_b64 v172, v[195:196], v[226:227] offset0:181 offset1:244
	v_dual_add_f32 v169, v169, v182 :: v_dual_add_f32 v168, v168, v181
	v_fmac_f32_e32 v185, 0x3e9e377a, v189
	v_dual_sub_f32 v181, v250, v248 :: v_dual_sub_f32 v182, v248, v250
	s_delay_alu instid0(VALU_DEP_3) | instskip(SKIP_4) | instid1(VALU_DEP_2)
	v_dual_add_f32 v169, v169, v234 :: v_dual_add_f32 v168, v168, v232
	ds_store_2addr_b64 v174, v[183:184], v[185:186] offset0:122 offset1:185
	v_sub_f32_e32 v186, v245, v250
	v_dual_add_f32 v180, v179, v203 :: v_dual_add_f32 v171, v193, v198
	v_dual_sub_f32 v183, v198, v248 :: v_dual_add_f32 v184, v247, v203
	v_add_f32_e32 v180, v180, v197
	s_delay_alu instid0(VALU_DEP_3) | instskip(NEXT) | instid1(VALU_DEP_1)
	v_add_f32_e32 v171, v171, v245
	v_add_f32_e32 v171, v171, v250
	s_delay_alu instid0(VALU_DEP_1)
	v_add_f32_e32 v179, v171, v248
	ds_store_2addr_b64 v255, v[168:169], v[179:180] offset0:126 offset1:189
	v_sub_f32_e32 v169, v245, v198
	s_wait_dscnt 0x6
	v_mul_f32_e32 v185, v207, v151
	v_dual_mul_f32 v168, v208, v151 :: v_dual_sub_f32 v179, v198, v245
	v_add_f32_e32 v180, v198, v248
	s_delay_alu instid0(VALU_DEP_3) | instskip(NEXT) | instid1(VALU_DEP_3)
	v_dual_add_f32 v196, v169, v181 :: v_dual_fmac_f32 v185, v208, v150
	v_fma_f32 v171, v207, v150, -v168
	v_add_f32_e32 v168, v245, v250
	v_fma_f32 v169, -0.5, v184, v194
	v_dual_fmac_f32 v194, -0.5, v190 :: v_dual_sub_f32 v187, v247, v199
	v_sub_f32_e32 v189, v199, v247
	v_dual_sub_f32 v195, v197, v203 :: v_dual_add_f32 v190, v179, v182
	v_fma_f32 v168, -0.5, v168, v193
	v_fma_f32 v193, -0.5, v180, v193
	v_fmamk_f32 v180, v186, 0x3f737871, v194
	v_dual_fmac_f32 v194, 0xbf737871, v186 :: v_dual_sub_f32 v191, v199, v197
	v_dual_add_f32 v189, v189, v195 :: v_dual_fmamk_f32 v182, v183, 0xbf737871, v169
	s_delay_alu instid0(VALU_DEP_4) | instskip(SKIP_1) | instid1(VALU_DEP_4)
	v_dual_fmamk_f32 v179, v188, 0xbf737871, v193 :: v_dual_add_f32 v184, v165, v201
	v_fmac_f32_e32 v169, 0x3f737871, v183
	v_fmac_f32_e32 v194, 0x3f167918, v183
	v_dual_fmac_f32 v180, 0xbf167918, v183 :: v_dual_add_f32 v183, v164, v200
	v_add_f32_e32 v187, v187, v192
	v_dual_fmac_f32 v193, 0x3f737871, v188 :: v_dual_add_f32 v184, v184, v249
	v_fmamk_f32 v181, v191, 0x3f737871, v168
	s_delay_alu instid0(VALU_DEP_4) | instskip(NEXT) | instid1(VALU_DEP_4)
	v_dual_fmac_f32 v168, 0xbf737871, v191 :: v_dual_add_f32 v183, v183, v202
	v_fmac_f32_e32 v194, 0x3e9e377a, v187
	s_delay_alu instid0(VALU_DEP_4) | instskip(NEXT) | instid1(VALU_DEP_3)
	v_dual_add_f32 v184, v184, v205 :: v_dual_fmac_f32 v193, 0xbf167918, v191
	v_dual_fmac_f32 v180, 0x3e9e377a, v187 :: v_dual_add_f32 v183, v183, v204
	s_delay_alu instid0(VALU_DEP_4) | instskip(SKIP_1) | instid1(VALU_DEP_4)
	v_fmac_f32_e32 v168, 0xbf167918, v188
	v_fmac_f32_e32 v169, 0x3f167918, v186
	v_dual_fmac_f32 v179, 0x3f167918, v191 :: v_dual_add_f32 v184, v184, v185
	s_delay_alu instid0(VALU_DEP_4) | instskip(NEXT) | instid1(VALU_DEP_4)
	v_add_f32_e32 v183, v183, v171
	v_dual_fmac_f32 v193, 0x3e9e377a, v196 :: v_dual_fmac_f32 v168, 0x3e9e377a, v190
	v_fmac_f32_e32 v182, 0xbf167918, v186
	v_dual_fmac_f32 v169, 0x3e9e377a, v189 :: v_dual_sub_f32 v186, v200, v171
	s_delay_alu instid0(VALU_DEP_2)
	v_dual_fmac_f32 v179, 0x3e9e377a, v196 :: v_dual_fmac_f32 v182, 0x3e9e377a, v189
	ds_store_b64 v255, v[193:194] offset:9072
	ds_store_b64 v255, v[168:169] offset:11592
	;; [unrolled: 1-line block ×4, first 2 shown]
	v_dual_sub_f32 v168, v200, v202 :: v_dual_sub_f32 v169, v171, v204
	v_sub_f32_e32 v183, v201, v185
	v_dual_sub_f32 v184, v249, v205 :: v_dual_sub_f32 v187, v202, v204
	s_delay_alu instid0(VALU_DEP_3) | instskip(SKIP_1) | instid1(VALU_DEP_2)
	v_dual_add_f32 v179, v168, v169 :: v_dual_add_f32 v168, v202, v204
	v_add_f32_e32 v169, v249, v205
	v_fma_f32 v226, -0.5, v168, v164
	s_delay_alu instid0(VALU_DEP_2) | instskip(SKIP_2) | instid1(VALU_DEP_1)
	v_fma_f32 v227, -0.5, v169, v165
	v_sub_f32_e32 v168, v201, v249
	v_sub_f32_e32 v169, v185, v205
	v_dual_fmac_f32 v181, 0x3f167918, v188 :: v_dual_add_f32 v180, v168, v169
	s_delay_alu instid0(VALU_DEP_1) | instskip(SKIP_3) | instid1(VALU_DEP_3)
	v_fmac_f32_e32 v181, 0x3e9e377a, v190
	v_fmamk_f32 v168, v183, 0x3f737871, v226
	v_fmamk_f32 v169, v186, 0xbf737871, v227
	v_fmac_f32_e32 v227, 0x3f737871, v186
	v_fmac_f32_e32 v168, 0x3f167918, v184
	s_delay_alu instid0(VALU_DEP_3) | instskip(NEXT) | instid1(VALU_DEP_1)
	v_fmac_f32_e32 v169, 0xbf167918, v187
	v_dual_fmac_f32 v168, 0x3e9e377a, v179 :: v_dual_fmac_f32 v169, 0x3e9e377a, v180
	ds_store_2addr_b64 v167, v[181:182], v[168:169] offset0:120 offset1:183
	v_dual_add_f32 v169, v200, v171 :: v_dual_add_f32 v182, v201, v185
	v_dual_sub_f32 v168, v202, v200 :: v_dual_sub_f32 v171, v204, v171
	v_fmac_f32_e32 v226, 0xbf737871, v183
	s_delay_alu instid0(VALU_DEP_3) | instskip(NEXT) | instid1(VALU_DEP_4)
	v_fma_f32 v164, -0.5, v169, v164
	v_fmac_f32_e32 v165, -0.5, v182
	s_delay_alu instid0(VALU_DEP_3) | instskip(NEXT) | instid1(VALU_DEP_3)
	v_dual_add_f32 v171, v168, v171 :: v_dual_fmac_f32 v226, 0xbf167918, v184
	v_dual_fmamk_f32 v168, v184, 0xbf737871, v164 :: v_dual_sub_f32 v185, v205, v185
	v_dual_fmac_f32 v164, 0x3f737871, v184 :: v_dual_sub_f32 v181, v249, v201
	s_delay_alu instid0(VALU_DEP_4) | instskip(SKIP_1) | instid1(VALU_DEP_4)
	v_fmamk_f32 v169, v187, 0x3f737871, v165
	v_fmac_f32_e32 v165, 0xbf737871, v187
	v_fmac_f32_e32 v168, 0x3f167918, v183
	s_delay_alu instid0(VALU_DEP_4) | instskip(NEXT) | instid1(VALU_DEP_4)
	v_dual_fmac_f32 v164, 0xbf167918, v183 :: v_dual_add_f32 v181, v181, v185
	v_fmac_f32_e32 v169, 0xbf167918, v186
	s_delay_alu instid0(VALU_DEP_4) | instskip(SKIP_1) | instid1(VALU_DEP_4)
	v_fmac_f32_e32 v165, 0x3f167918, v186
	v_fmac_f32_e32 v227, 0x3f167918, v187
	v_fmac_f32_e32 v164, 0x3e9e377a, v171
	s_delay_alu instid0(VALU_DEP_4) | instskip(NEXT) | instid1(VALU_DEP_4)
	v_dual_fmac_f32 v168, 0x3e9e377a, v171 :: v_dual_fmac_f32 v169, 0x3e9e377a, v181
	v_dual_fmac_f32 v165, 0x3e9e377a, v181 :: v_dual_fmac_f32 v226, 0x3e9e377a, v179
	s_delay_alu instid0(VALU_DEP_4)
	v_fmac_f32_e32 v227, 0x3e9e377a, v180
	ds_store_b64 v255, v[164:165] offset:9576
	ds_store_b64 v255, v[168:169] offset:7056
	;; [unrolled: 1-line block ×3, first 2 shown]
	global_wb scope:SCOPE_SE
	s_wait_dscnt 0x0
	s_barrier_signal -1
	s_barrier_wait -1
	global_inv scope:SCOPE_SE
	scratch_load_b64 v[164:165], off, off   ; 8-byte Folded Reload
	s_wait_loadcnt 0x0
	s_clause 0x3
	global_load_b64 v[164:165], v[164:165], off offset:12600
	global_load_b64 v[168:169], v255, s[2:3] offset:504
	global_load_b64 v[183:184], v255, s[2:3] offset:1008
	global_load_b64 v[185:186], v255, s[2:3] offset:1512
	ds_load_2addr_b64 v[179:182], v255 offset1:63
	s_wait_loadcnt_dscnt 0x300
	v_mul_f32_e32 v171, v180, v165
	v_mul_f32_e32 v188, v179, v165
	s_wait_loadcnt 0x2
	v_mul_f32_e32 v165, v181, v169
	s_delay_alu instid0(VALU_DEP_3) | instskip(NEXT) | instid1(VALU_DEP_3)
	v_fma_f32 v187, v179, v164, -v171
	v_fmac_f32_e32 v188, v180, v164
	v_mul_f32_e32 v164, v182, v169
	s_delay_alu instid0(VALU_DEP_4)
	v_fmac_f32_e32 v165, v182, v168
	ds_store_b64 v255, v[187:188]
	v_fma_f32 v164, v181, v168, -v164
	s_clause 0x3
	global_load_b64 v[168:169], v255, s[2:3] offset:4200
	global_load_b64 v[187:188], v255, s[2:3] offset:4704
	;; [unrolled: 1-line block ×4, first 2 shown]
	ds_load_2addr_b64 v[179:182], v172 offset0:13 offset1:76
	s_wait_loadcnt_dscnt 0x300
	v_mul_f32_e32 v171, v180, v169
	s_wait_loadcnt 0x2
	v_dual_mul_f32 v194, v179, v169 :: v_dual_mul_f32 v169, v181, v188
	s_delay_alu instid0(VALU_DEP_2) | instskip(NEXT) | instid1(VALU_DEP_2)
	v_fma_f32 v193, v179, v168, -v171
	v_fmac_f32_e32 v194, v180, v168
	v_mul_f32_e32 v168, v182, v188
	s_delay_alu instid0(VALU_DEP_4) | instskip(NEXT) | instid1(VALU_DEP_2)
	v_fmac_f32_e32 v169, v182, v187
	v_fma_f32 v168, v181, v187, -v168
	s_clause 0x3
	global_load_b64 v[187:188], v255, s[2:3] offset:8400
	global_load_b64 v[195:196], v255, s[2:3] offset:8904
	;; [unrolled: 1-line block ×4, first 2 shown]
	ds_load_2addr_b64 v[179:182], v166 offset0:26 offset1:89
	s_wait_loadcnt_dscnt 0x300
	v_mul_f32_e32 v171, v180, v188
	v_mul_f32_e32 v202, v179, v188
	s_wait_loadcnt 0x2
	v_mul_f32_e32 v188, v181, v196
	s_delay_alu instid0(VALU_DEP_3) | instskip(NEXT) | instid1(VALU_DEP_3)
	v_fma_f32 v201, v179, v187, -v171
	v_dual_mul_f32 v171, v182, v196 :: v_dual_fmac_f32 v202, v180, v187
	s_delay_alu instid0(VALU_DEP_3) | instskip(NEXT) | instid1(VALU_DEP_2)
	v_fmac_f32_e32 v188, v182, v195
	v_fma_f32 v187, v181, v195, -v171
	ds_load_2addr_b64 v[179:182], v255 offset0:126 offset1:189
	s_wait_dscnt 0x0
	v_mul_f32_e32 v171, v180, v184
	v_mul_f32_e32 v196, v179, v184
	;; [unrolled: 1-line block ×3, first 2 shown]
	s_delay_alu instid0(VALU_DEP_3) | instskip(NEXT) | instid1(VALU_DEP_3)
	v_fma_f32 v195, v179, v183, -v171
	v_dual_mul_f32 v171, v182, v186 :: v_dual_fmac_f32 v196, v180, v183
	s_delay_alu instid0(VALU_DEP_3) | instskip(NEXT) | instid1(VALU_DEP_2)
	v_fmac_f32_e32 v184, v182, v185
	v_fma_f32 v183, v181, v185, -v171
	ds_load_2addr_b64 v[179:182], v172 offset0:139 offset1:202
	s_wait_dscnt 0x0
	v_mul_f32_e32 v171, v180, v190
	v_mul_f32_e32 v186, v179, v190
	;; [unrolled: 1-line block ×3, first 2 shown]
	s_delay_alu instid0(VALU_DEP_3) | instskip(NEXT) | instid1(VALU_DEP_3)
	v_fma_f32 v185, v179, v189, -v171
	v_dual_mul_f32 v171, v182, v192 :: v_dual_fmac_f32 v186, v180, v189
	s_delay_alu instid0(VALU_DEP_3) | instskip(NEXT) | instid1(VALU_DEP_2)
	v_fmac_f32_e32 v190, v182, v191
	v_fma_f32 v189, v181, v191, -v171
	ds_load_2addr_b64 v[179:182], v166 offset0:152 offset1:215
	s_wait_loadcnt_dscnt 0x100
	v_mul_f32_e32 v171, v180, v198
	v_mul_f32_e32 v192, v179, v198
	s_wait_loadcnt 0x0
	v_mul_f32_e32 v198, v181, v200
	s_delay_alu instid0(VALU_DEP_3) | instskip(NEXT) | instid1(VALU_DEP_3)
	v_fma_f32 v191, v179, v197, -v171
	v_dual_mul_f32 v171, v182, v200 :: v_dual_fmac_f32 v192, v180, v197
	s_delay_alu instid0(VALU_DEP_3) | instskip(NEXT) | instid1(VALU_DEP_2)
	v_fmac_f32_e32 v198, v182, v199
	v_fma_f32 v197, v181, v199, -v171
	s_clause 0x3
	global_load_b64 v[199:200], v255, s[2:3] offset:2016
	global_load_b64 v[203:204], v255, s[2:3] offset:2520
	;; [unrolled: 1-line block ×4, first 2 shown]
	ds_load_2addr_b64 v[179:182], v176 offset0:124 offset1:187
	s_wait_loadcnt_dscnt 0x300
	v_mul_f32_e32 v171, v180, v200
	v_mul_f32_e32 v210, v179, v200
	s_wait_loadcnt 0x2
	v_mul_f32_e32 v200, v181, v204
	s_delay_alu instid0(VALU_DEP_2) | instskip(NEXT) | instid1(VALU_DEP_2)
	v_fmac_f32_e32 v210, v180, v199
	v_fmac_f32_e32 v200, v182, v203
	v_fma_f32 v209, v179, v199, -v171
	v_mul_f32_e32 v171, v182, v204
	s_delay_alu instid0(VALU_DEP_1)
	v_fma_f32 v199, v181, v203, -v171
	s_clause 0x3
	global_load_b64 v[203:204], v255, s[2:3] offset:6216
	global_load_b64 v[231:232], v255, s[2:3] offset:6720
	;; [unrolled: 1-line block ×4, first 2 shown]
	ds_load_2addr_b64 v[179:182], v175 offset0:9 offset1:72
	s_wait_loadcnt_dscnt 0x300
	v_mul_f32_e32 v171, v180, v204
	v_mul_f32_e32 v238, v179, v204
	s_wait_loadcnt 0x2
	v_mul_f32_e32 v204, v181, v232
	s_delay_alu instid0(VALU_DEP_2) | instskip(NEXT) | instid1(VALU_DEP_2)
	v_fmac_f32_e32 v238, v180, v203
	v_fmac_f32_e32 v204, v182, v231
	v_fma_f32 v237, v179, v203, -v171
	v_mul_f32_e32 v171, v182, v232
	s_delay_alu instid0(VALU_DEP_1)
	v_fma_f32 v203, v181, v231, -v171
	s_clause 0x3
	global_load_b64 v[231:232], v255, s[2:3] offset:10416
	global_load_b64 v[239:240], v255, s[2:3] offset:10920
	;; [unrolled: 1-line block ×4, first 2 shown]
	ds_load_2addr_b64 v[179:182], v178 offset0:22 offset1:85
	s_wait_loadcnt_dscnt 0x300
	v_mul_f32_e32 v171, v180, v232
	v_mul_f32_e32 v248, v179, v232
	s_wait_loadcnt 0x2
	v_mul_f32_e32 v232, v181, v240
	s_delay_alu instid0(VALU_DEP_2) | instskip(NEXT) | instid1(VALU_DEP_2)
	v_fmac_f32_e32 v248, v180, v231
	v_fmac_f32_e32 v232, v182, v239
	v_fma_f32 v247, v179, v231, -v171
	v_mul_f32_e32 v171, v182, v240
	s_delay_alu instid0(VALU_DEP_1) | instskip(SKIP_4) | instid1(VALU_DEP_2)
	v_fma_f32 v231, v181, v239, -v171
	ds_load_2addr_b64 v[179:182], v174 offset0:122 offset1:185
	s_wait_dscnt 0x0
	v_mul_f32_e32 v240, v179, v206
	v_dual_mul_f32 v171, v180, v206 :: v_dual_mul_f32 v206, v181, v208
	v_fmac_f32_e32 v240, v180, v205
	s_delay_alu instid0(VALU_DEP_2) | instskip(SKIP_1) | instid1(VALU_DEP_4)
	v_fma_f32 v239, v179, v205, -v171
	v_mul_f32_e32 v171, v182, v208
	v_fmac_f32_e32 v206, v182, v207
	s_delay_alu instid0(VALU_DEP_2)
	v_fma_f32 v205, v181, v207, -v171
	ds_load_2addr_b64 v[179:182], v175 offset0:135 offset1:198
	s_wait_dscnt 0x0
	v_mul_f32_e32 v171, v180, v234
	v_mul_f32_e32 v208, v179, v234
	;; [unrolled: 1-line block ×3, first 2 shown]
	s_delay_alu instid0(VALU_DEP_3) | instskip(NEXT) | instid1(VALU_DEP_3)
	v_fma_f32 v207, v179, v233, -v171
	v_dual_mul_f32 v171, v182, v236 :: v_dual_fmac_f32 v208, v180, v233
	s_delay_alu instid0(VALU_DEP_3) | instskip(NEXT) | instid1(VALU_DEP_2)
	v_fmac_f32_e32 v234, v182, v235
	v_fma_f32 v233, v181, v235, -v171
	ds_load_2addr_b64 v[179:182], v178 offset0:148 offset1:211
	s_wait_loadcnt_dscnt 0x100
	v_mul_f32_e32 v171, v180, v242
	v_mul_f32_e32 v236, v179, v242
	s_delay_alu instid0(VALU_DEP_2) | instskip(SKIP_1) | instid1(VALU_DEP_2)
	v_fma_f32 v235, v179, v241, -v171
	s_wait_loadcnt 0x0
	v_dual_mul_f32 v171, v182, v244 :: v_dual_fmac_f32 v236, v180, v241
	v_mul_f32_e32 v180, v181, v244
	s_delay_alu instid0(VALU_DEP_2) | instskip(NEXT) | instid1(VALU_DEP_2)
	v_fma_f32 v179, v181, v243, -v171
	v_fmac_f32_e32 v180, v182, v243
	ds_store_2addr_b64 v170, v[189:190], v[237:238] offset0:74 offset1:137
	ds_store_2addr_b64 v173, v[197:198], v[247:248] offset0:87 offset1:150
	;; [unrolled: 1-line block ×11, first 2 shown]
	ds_store_b64 v255, v[179:180] offset:11928
	s_and_saveexec_b32 s1, vcc_lo
	s_cbranch_execz .LBB0_17
; %bb.16:
	s_wait_alu 0xfffe
	v_add_co_u32 v164, s2, s2, v255
	s_wait_alu 0xf1ff
	v_add_co_ci_u32_e64 v165, null, s3, 0, s2
	s_clause 0x2
	global_load_b64 v[167:168], v[164:165], off offset:4032
	global_load_b64 v[169:170], v[164:165], off offset:8232
	;; [unrolled: 1-line block ×3, first 2 shown]
	ds_load_b64 v[179:180], v255 offset:4032
	ds_load_b64 v[181:182], v255 offset:8232
	ds_load_b64 v[183:184], v255 offset:12432
	s_wait_loadcnt_dscnt 0x202
	v_mul_f32_e32 v173, v180, v168
	s_wait_loadcnt_dscnt 0x101
	v_dual_mul_f32 v171, v179, v168 :: v_dual_mul_f32 v168, v181, v170
	s_wait_loadcnt_dscnt 0x0
	v_dual_mul_f32 v177, v182, v170 :: v_dual_mul_f32 v186, v183, v165
	v_mul_f32_e32 v185, v184, v165
	v_fma_f32 v170, v179, v167, -v173
	v_dual_fmac_f32 v168, v182, v169 :: v_dual_fmac_f32 v171, v180, v167
	s_delay_alu instid0(VALU_DEP_4) | instskip(NEXT) | instid1(VALU_DEP_4)
	v_fma_f32 v167, v181, v169, -v177
	v_fma_f32 v185, v183, v164, -v185
	v_fmac_f32_e32 v186, v184, v164
	ds_store_b64 v255, v[170:171] offset:4032
	ds_store_b64 v255, v[167:168] offset:8232
	;; [unrolled: 1-line block ×3, first 2 shown]
.LBB0_17:
	s_wait_alu 0xfffe
	s_or_b32 exec_lo, exec_lo, s1
	global_wb scope:SCOPE_SE
	s_wait_dscnt 0x0
	s_barrier_signal -1
	s_barrier_wait -1
	global_inv scope:SCOPE_SE
	ds_load_2addr_b64 v[208:211], v172 offset0:13 offset1:76
	ds_load_2addr_b64 v[204:207], v166 offset0:26 offset1:89
	;; [unrolled: 1-line block ×10, first 2 shown]
	ds_load_2addr_b64 v[176:179], v255 offset1:63
	ds_load_2addr_b64 v[172:175], v255 offset0:126 offset1:189
	s_and_saveexec_b32 s1, vcc_lo
	s_cbranch_execz .LBB0_19
; %bb.18:
	ds_load_b64 v[226:227], v255 offset:4032
	ds_load_b64 v[222:223], v255 offset:8232
	;; [unrolled: 1-line block ×3, first 2 shown]
.LBB0_19:
	s_wait_alu 0xfffe
	s_or_b32 exec_lo, exec_lo, s1
	s_wait_dscnt 0xa
	v_dual_add_f32 v231, v208, v204 :: v_dual_add_f32 v234, v209, v205
	s_wait_dscnt 0x1
	v_dual_add_f32 v232, v176, v208 :: v_dual_sub_f32 v233, v209, v205
	v_dual_add_f32 v209, v177, v209 :: v_dual_sub_f32 v208, v208, v204
	;; [unrolled: 1-line block ×3, first 2 shown]
	v_dual_add_f32 v236, v178, v210 :: v_dual_add_f32 v237, v211, v207
	v_dual_add_f32 v211, v179, v211 :: v_dual_sub_f32 v210, v210, v206
	s_delay_alu instid0(VALU_DEP_4) | instskip(NEXT) | instid1(VALU_DEP_2)
	v_dual_add_f32 v204, v232, v204 :: v_dual_add_f32 v205, v209, v205
	v_dual_add_f32 v206, v236, v206 :: v_dual_add_f32 v207, v211, v207
	;; [unrolled: 1-line block ×3, first 2 shown]
	s_wait_dscnt 0x0
	v_dual_add_f32 v211, v172, v200 :: v_dual_sub_f32 v236, v201, v197
	v_dual_add_f32 v201, v173, v201 :: v_dual_sub_f32 v200, v200, v196
	;; [unrolled: 1-line block ×3, first 2 shown]
	v_dual_add_f32 v240, v174, v202 :: v_dual_add_f32 v241, v203, v199
	v_dual_add_f32 v203, v175, v203 :: v_dual_sub_f32 v202, v202, v198
	s_delay_alu instid0(VALU_DEP_4) | instskip(NEXT) | instid1(VALU_DEP_2)
	v_dual_add_f32 v196, v211, v196 :: v_dual_add_f32 v197, v201, v197
	v_dual_add_f32 v198, v240, v198 :: v_dual_add_f32 v199, v203, v199
	v_dual_add_f32 v201, v192, v188 :: v_dual_sub_f32 v240, v193, v189
	v_dual_add_f32 v203, v168, v192 :: v_dual_add_f32 v244, v170, v194
	v_dual_add_f32 v211, v193, v189 :: v_dual_sub_f32 v192, v192, v188
	v_add_f32_e32 v193, v169, v193
	v_add_f32_e32 v245, v195, v191
	v_sub_f32_e32 v247, v195, v191
	v_dual_add_f32 v195, v171, v195 :: v_dual_sub_f32 v248, v184, v180
	v_dual_add_f32 v243, v194, v190 :: v_dual_add_f32 v188, v203, v188
	v_dual_sub_f32 v194, v194, v190 :: v_dual_add_f32 v189, v193, v189
	s_delay_alu instid0(VALU_DEP_3)
	v_add_f32_e32 v191, v195, v191
	v_dual_add_f32 v193, v184, v180 :: v_dual_add_f32 v250, v187, v183
	v_fma_f32 v176, -0.5, v231, v176
	v_dual_add_f32 v195, v164, v184 :: v_dual_add_f32 v184, v166, v186
	v_sub_f32_e32 v251, v187, v183
	v_fma_f32 v178, -0.5, v235, v178
	v_add_f32_e32 v187, v167, v187
	global_wb scope:SCOPE_SE
	s_barrier_signal -1
	s_barrier_wait -1
	global_inv scope:SCOPE_SE
	v_fma_f32 v172, -0.5, v209, v172
	v_add_f32_e32 v183, v187, v183
	scratch_load_b32 v187, off, off offset:216 th:TH_LOAD_LU ; 4-byte Folded Reload
	v_add_f32_e32 v190, v244, v190
	v_dual_sub_f32 v244, v185, v181 :: v_dual_add_f32 v249, v186, v182
	v_sub_f32_e32 v186, v186, v182
	v_add_f32_e32 v182, v184, v182
	v_fma_f32 v177, -0.5, v234, v177
	v_fmamk_f32 v184, v233, 0xbf5db3d7, v176
	v_fmac_f32_e32 v176, 0x3f5db3d7, v233
	v_dual_add_f32 v203, v185, v181 :: v_dual_add_f32 v180, v195, v180
	v_add_f32_e32 v185, v165, v185
	v_fma_f32 v174, -0.5, v239, v174
	v_fma_f32 v168, -0.5, v201, v168
	v_fmac_f32_e32 v179, -0.5, v237
	v_fma_f32 v170, -0.5, v243, v170
	v_add_f32_e32 v181, v185, v181
	v_fmamk_f32 v185, v208, 0x3f5db3d7, v177
	v_fmac_f32_e32 v177, 0xbf5db3d7, v208
	v_fma_f32 v173, -0.5, v232, v173
	v_fma_f32 v164, -0.5, v193, v164
	v_fmac_f32_e32 v175, -0.5, v241
	v_fma_f32 v169, -0.5, v211, v169
	v_fma_f32 v166, -0.5, v249, v166
	v_fmac_f32_e32 v167, -0.5, v250
	v_fma_f32 v165, -0.5, v203, v165
	s_wait_loadcnt 0x0
	ds_store_2addr_b64 v187, v[204:205], v[184:185] offset1:1
	ds_store_b64 v187, v[176:177] offset:16
	scratch_load_b32 v184, off, off offset:212 th:TH_LOAD_LU ; 4-byte Folded Reload
	v_fmamk_f32 v176, v238, 0xbf5db3d7, v178
	v_dual_fmamk_f32 v177, v210, 0x3f5db3d7, v179 :: v_dual_fmac_f32 v178, 0x3f5db3d7, v238
	v_fmac_f32_e32 v179, 0xbf5db3d7, v210
	v_add_f32_e32 v185, v225, v223
	v_sub_f32_e32 v187, v223, v225
	s_wait_loadcnt 0x0
	ds_store_2addr_b64 v184, v[206:207], v[176:177] offset1:1
	ds_store_b64 v184, v[178:179] offset:16
	scratch_load_b32 v178, off, off offset:208 th:TH_LOAD_LU ; 4-byte Folded Reload
	v_fmamk_f32 v176, v236, 0xbf5db3d7, v172
	v_dual_fmamk_f32 v177, v200, 0x3f5db3d7, v173 :: v_dual_fmac_f32 v172, 0x3f5db3d7, v236
	v_fmac_f32_e32 v173, 0xbf5db3d7, v200
	v_fmamk_f32 v179, v186, 0x3f5db3d7, v167
	v_fmac_f32_e32 v167, 0xbf5db3d7, v186
	s_wait_loadcnt 0x0
	ds_store_2addr_b64 v178, v[196:197], v[176:177] offset1:1
	ds_store_b64 v178, v[172:173] offset:16
	scratch_load_b32 v176, off, off offset:204 th:TH_LOAD_LU ; 4-byte Folded Reload
	v_fmamk_f32 v172, v242, 0xbf5db3d7, v174
	v_dual_fmamk_f32 v173, v202, 0x3f5db3d7, v175 :: v_dual_fmac_f32 v174, 0x3f5db3d7, v242
	v_dual_fmac_f32 v175, 0xbf5db3d7, v202 :: v_dual_fmamk_f32 v178, v251, 0xbf5db3d7, v166
	v_fmac_f32_e32 v166, 0x3f5db3d7, v251
	s_wait_loadcnt 0x0
	ds_store_2addr_b64 v176, v[198:199], v[172:173] offset1:1
	ds_store_b64 v176, v[174:175] offset:16
	v_dual_fmamk_f32 v173, v192, 0x3f5db3d7, v169 :: v_dual_add_f32 v186, v226, v222
	v_dual_fmac_f32 v169, 0xbf5db3d7, v192 :: v_dual_add_f32 v184, v224, v222
	v_dual_fmac_f32 v171, -0.5, v245 :: v_dual_fmamk_f32 v172, v240, 0xbf5db3d7, v168
	v_fmac_f32_e32 v168, 0x3f5db3d7, v240
	v_fmamk_f32 v174, v247, 0xbf5db3d7, v170
	s_delay_alu instid0(VALU_DEP_3)
	v_dual_fmac_f32 v226, -0.5, v184 :: v_dual_fmamk_f32 v175, v194, 0x3f5db3d7, v171
	v_add_f32_e32 v184, v227, v223
	v_fmac_f32_e32 v170, 0x3f5db3d7, v247
	v_fmac_f32_e32 v171, 0xbf5db3d7, v194
	v_fmamk_f32 v177, v248, 0x3f5db3d7, v165
	v_fmac_f32_e32 v165, 0xbf5db3d7, v248
	v_add_f32_e32 v223, v225, v184
	scratch_load_b32 v184, off, off offset:184 th:TH_LOAD_LU ; 4-byte Folded Reload
	v_fmac_f32_e32 v227, -0.5, v185
	v_dual_sub_f32 v185, v222, v224 :: v_dual_add_f32 v222, v224, v186
	v_fmamk_f32 v224, v187, 0xbf5db3d7, v226
	v_fmamk_f32 v176, v244, 0xbf5db3d7, v164
	v_fmac_f32_e32 v164, 0x3f5db3d7, v244
	s_delay_alu instid0(VALU_DEP_4)
	v_dual_fmac_f32 v226, 0x3f5db3d7, v187 :: v_dual_fmamk_f32 v225, v185, 0x3f5db3d7, v227
	v_fmac_f32_e32 v227, 0xbf5db3d7, v185
	s_wait_loadcnt 0x0
	ds_store_2addr_b64 v184, v[188:189], v[172:173] offset1:1
	ds_store_b64 v184, v[168:169] offset:16
	scratch_load_b32 v168, off, off offset:196 th:TH_LOAD_LU ; 4-byte Folded Reload
	s_wait_loadcnt 0x0
	ds_store_2addr_b64 v168, v[190:191], v[174:175] offset1:1
	ds_store_b64 v168, v[170:171] offset:16
	scratch_load_b32 v168, off, off offset:192 th:TH_LOAD_LU ; 4-byte Folded Reload
	;; [unrolled: 4-line block ×3, first 2 shown]
	s_wait_loadcnt 0x0
	ds_store_2addr_b64 v164, v[182:183], v[178:179] offset1:1
	ds_store_b64 v164, v[166:167] offset:16
	s_and_saveexec_b32 s1, vcc_lo
	s_cbranch_execz .LBB0_21
; %bb.20:
	scratch_load_b32 v164, off, off offset:252 th:TH_LOAD_LU ; 4-byte Folded Reload
	s_wait_loadcnt 0x0
	v_lshlrev_b32_e32 v164, 3, v164
	ds_store_2addr_b64 v164, v[222:223], v[224:225] offset1:1
	ds_store_b64 v164, v[226:227] offset:16
.LBB0_21:
	s_wait_alu 0xfffe
	s_or_b32 exec_lo, exec_lo, s1
	v_add_nc_u32_e32 v164, 0x1000, v255
	v_add_nc_u32_e32 v165, 0x2000, v255
	global_wb scope:SCOPE_SE
	s_wait_dscnt 0x0
	s_barrier_signal -1
	s_barrier_wait -1
	global_inv scope:SCOPE_SE
	ds_load_2addr_b64 v[208:211], v164 offset0:13 offset1:76
	ds_load_2addr_b64 v[204:207], v165 offset0:26 offset1:89
	;; [unrolled: 1-line block ×3, first 2 shown]
	v_add_nc_u32_e32 v164, 0x400, v255
	v_add_nc_u32_e32 v172, 0x1800, v255
	;; [unrolled: 1-line block ×4, first 2 shown]
	ds_load_2addr_b64 v[200:203], v165 offset0:152 offset1:215
	ds_load_2addr_b64 v[168:171], v164 offset0:124 offset1:187
	;; [unrolled: 1-line block ×7, first 2 shown]
	ds_load_2addr_b64 v[176:179], v255 offset1:63
	ds_load_2addr_b64 v[172:175], v255 offset0:126 offset1:189
	s_and_saveexec_b32 s1, vcc_lo
	s_cbranch_execz .LBB0_23
; %bb.22:
	ds_load_b64 v[222:223], v255 offset:4032
	ds_load_b64 v[224:225], v255 offset:8232
	;; [unrolled: 1-line block ×3, first 2 shown]
.LBB0_23:
	s_wait_alu 0xfffe
	s_or_b32 exec_lo, exec_lo, s1
	s_wait_dscnt 0xb
	v_mul_f32_e32 v231, v37, v209
	v_mul_f32_e32 v37, v37, v208
	global_wb scope:SCOPE_SE
	s_wait_dscnt 0x0
	s_barrier_signal -1
	s_barrier_wait -1
	v_fmac_f32_e32 v231, v36, v208
	v_fma_f32 v36, v36, v209, -v37
	v_mul_f32_e32 v37, v39, v205
	v_mul_f32_e32 v39, v39, v204
	global_inv scope:SCOPE_SE
	v_fmac_f32_e32 v37, v38, v204
	v_fma_f32 v38, v38, v205, -v39
	v_mul_f32_e32 v39, v29, v211
	v_mul_f32_e32 v29, v29, v210
	s_delay_alu instid0(VALU_DEP_2) | instskip(NEXT) | instid1(VALU_DEP_2)
	v_fmac_f32_e32 v39, v28, v210
	v_fma_f32 v28, v28, v211, -v29
	v_mul_f32_e32 v29, v31, v207
	v_mul_f32_e32 v31, v31, v206
	s_delay_alu instid0(VALU_DEP_2) | instskip(NEXT) | instid1(VALU_DEP_2)
	;; [unrolled: 5-line block ×12, first 2 shown]
	v_fmac_f32_e32 v185, v10, v180
	v_fma_f32 v180, v10, v181, -v8
	v_mul_f32_e32 v181, v5, v187
	v_mul_f32_e32 v5, v5, v186
	v_sub_f32_e32 v10, v36, v38
	s_delay_alu instid0(VALU_DEP_3) | instskip(NEXT) | instid1(VALU_DEP_3)
	v_fmac_f32_e32 v181, v4, v186
	v_fma_f32 v186, v4, v187, -v5
	v_mul_f32_e32 v187, v7, v183
	v_mul_f32_e32 v4, v7, v182
	;; [unrolled: 1-line block ×3, first 2 shown]
	s_delay_alu instid0(VALU_DEP_3) | instskip(NEXT) | instid1(VALU_DEP_3)
	v_fmac_f32_e32 v187, v6, v182
	v_fma_f32 v182, v6, v183, -v4
	v_mul_f32_e32 v4, v1, v225
	v_mul_f32_e32 v1, v1, v224
	s_delay_alu instid0(VALU_DEP_2) | instskip(NEXT) | instid1(VALU_DEP_2)
	v_dual_fmac_f32 v5, v2, v226 :: v_dual_fmac_f32 v4, v0, v224
	v_fma_f32 v6, v0, v225, -v1
	v_dual_mul_f32 v0, v3, v226 :: v_dual_add_f32 v1, v177, v36
	v_add_f32_e32 v3, v36, v38
	scratch_load_b32 v36, off, off offset:224 th:TH_LOAD_LU ; 4-byte Folded Reload
	v_sub_f32_e32 v11, v231, v37
	v_fma_f32 v7, v2, v227, -v0
	v_add_f32_e32 v2, v231, v37
	v_add_f32_e32 v0, v176, v231
	v_fma_f32 v3, -0.5, v3, v177
	v_add_f32_e32 v1, v1, v38
	s_delay_alu instid0(VALU_DEP_4) | instskip(NEXT) | instid1(VALU_DEP_3)
	v_fma_f32 v2, -0.5, v2, v176
	v_dual_add_f32 v0, v0, v37 :: v_dual_fmamk_f32 v9, v11, 0x3f5db3d7, v3
	s_delay_alu instid0(VALU_DEP_2)
	v_dual_fmac_f32 v3, 0xbf5db3d7, v11 :: v_dual_fmamk_f32 v8, v10, 0xbf5db3d7, v2
	v_fmac_f32_e32 v2, 0x3f5db3d7, v10
	scratch_load_b32 v10, off, off offset:220 th:TH_LOAD_LU ; 4-byte Folded Reload
	s_wait_loadcnt 0x1
	ds_store_2addr_b64 v36, v[0:1], v[8:9] offset1:3
	ds_store_b64 v36, v[2:3] offset:48
	v_dual_add_f32 v0, v39, v29 :: v_dual_add_f32 v3, v28, v30
	v_add_f32_e32 v2, v178, v39
	v_sub_f32_e32 v8, v28, v30
	s_delay_alu instid0(VALU_DEP_3) | instskip(NEXT) | instid1(VALU_DEP_4)
	v_fma_f32 v178, -0.5, v0, v178
	v_dual_add_f32 v0, v179, v28 :: v_dual_fmac_f32 v179, -0.5, v3
	v_sub_f32_e32 v9, v39, v29
	s_delay_alu instid0(VALU_DEP_2) | instskip(NEXT) | instid1(VALU_DEP_4)
	v_dual_add_f32 v1, v0, v30 :: v_dual_add_f32 v0, v2, v29
	v_fmamk_f32 v2, v8, 0xbf5db3d7, v178
	s_delay_alu instid0(VALU_DEP_3)
	v_dual_fmamk_f32 v3, v9, 0x3f5db3d7, v179 :: v_dual_fmac_f32 v178, 0x3f5db3d7, v8
	v_fmac_f32_e32 v179, 0xbf5db3d7, v9
	s_wait_loadcnt 0x0
	ds_store_2addr_b64 v10, v[0:1], v[2:3] offset1:3
	v_add_f32_e32 v1, v173, v24
	ds_store_b64 v10, v[178:179] offset:48
	v_sub_f32_e32 v10, v24, v26
	v_add_f32_e32 v3, v24, v26
	scratch_load_b32 v24, off, off offset:200 th:TH_LOAD_LU ; 4-byte Folded Reload
	v_add_f32_e32 v0, v172, v31
	v_add_f32_e32 v2, v31, v25
	v_sub_f32_e32 v11, v31, v25
	v_fma_f32 v3, -0.5, v3, v173
	s_delay_alu instid0(VALU_DEP_4) | instskip(NEXT) | instid1(VALU_DEP_4)
	v_dual_add_f32 v1, v1, v26 :: v_dual_add_f32 v0, v0, v25
	v_fma_f32 v2, -0.5, v2, v172
	s_delay_alu instid0(VALU_DEP_3) | instskip(NEXT) | instid1(VALU_DEP_2)
	v_fmamk_f32 v9, v11, 0x3f5db3d7, v3
	v_dual_fmac_f32 v3, 0xbf5db3d7, v11 :: v_dual_fmamk_f32 v8, v10, 0xbf5db3d7, v2
	v_fmac_f32_e32 v2, 0x3f5db3d7, v10
	v_sub_f32_e32 v10, v20, v22
	s_wait_loadcnt 0x0
	ds_store_2addr_b64 v24, v[0:1], v[8:9] offset1:3
	v_add_f32_e32 v0, v27, v17
	ds_store_b64 v24, v[2:3] offset:48
	v_add_f32_e32 v2, v174, v27
	scratch_load_b32 v24, off, off offset:176 th:TH_LOAD_LU ; 4-byte Folded Reload
	v_add_f32_e32 v3, v16, v18
	v_fma_f32 v174, -0.5, v0, v174
	v_add_f32_e32 v0, v175, v16
	v_dual_sub_f32 v9, v27, v17 :: v_dual_sub_f32 v8, v16, v18
	s_delay_alu instid0(VALU_DEP_4) | instskip(NEXT) | instid1(VALU_DEP_3)
	v_fmac_f32_e32 v175, -0.5, v3
	v_dual_add_f32 v1, v0, v18 :: v_dual_add_f32 v0, v2, v17
	scratch_load_b32 v17, off, off offset:180 th:TH_LOAD_LU ; 4-byte Folded Reload
	v_fmamk_f32 v2, v8, 0xbf5db3d7, v174
	v_fmamk_f32 v3, v9, 0x3f5db3d7, v175
	v_dual_sub_f32 v11, v19, v21 :: v_dual_fmac_f32 v174, 0x3f5db3d7, v8
	v_dual_fmac_f32 v175, 0xbf5db3d7, v9 :: v_dual_add_f32 v18, v167, v186
	s_wait_loadcnt 0x0
	ds_store_2addr_b64 v17, v[0:1], v[2:3] offset1:3
	v_dual_add_f32 v0, v19, v21 :: v_dual_add_f32 v1, v20, v22
	v_dual_add_f32 v2, v168, v19 :: v_dual_add_f32 v3, v169, v20
	v_add_f32_e32 v16, v23, v13
	s_delay_alu instid0(VALU_DEP_3) | instskip(NEXT) | instid1(VALU_DEP_4)
	v_fma_f32 v0, -0.5, v0, v168
	v_fma_f32 v1, -0.5, v1, v169
	s_delay_alu instid0(VALU_DEP_4)
	v_dual_add_f32 v2, v2, v21 :: v_dual_add_f32 v3, v3, v22
	ds_store_b64 v17, v[174:175] offset:48
	v_fmamk_f32 v8, v10, 0xbf5db3d7, v0
	v_fmamk_f32 v9, v11, 0x3f5db3d7, v1
	v_add_f32_e32 v17, v170, v23
	v_fma_f32 v170, -0.5, v16, v170
	v_sub_f32_e32 v16, v12, v14
	v_fmac_f32_e32 v0, 0x3f5db3d7, v10
	ds_store_2addr_b64 v24, v[2:3], v[8:9] offset1:3
	v_dual_add_f32 v2, v12, v14 :: v_dual_add_f32 v3, v171, v12
	v_dual_fmac_f32 v1, 0xbf5db3d7, v11 :: v_dual_fmamk_f32 v8, v16, 0xbf5db3d7, v170
	v_add_f32_e32 v9, v15, v185
	s_delay_alu instid0(VALU_DEP_3)
	v_dual_fmac_f32 v171, -0.5, v2 :: v_dual_add_f32 v10, v17, v13
	v_sub_f32_e32 v2, v23, v13
	v_add_f32_e32 v11, v3, v14
	v_add_f32_e32 v3, v164, v15
	;; [unrolled: 1-line block ×3, first 2 shown]
	v_fmac_f32_e32 v170, 0x3f5db3d7, v16
	v_fma_f32 v12, -0.5, v9, v164
	v_fmamk_f32 v9, v2, 0x3f5db3d7, v171
	v_dual_fmac_f32 v171, 0xbf5db3d7, v2 :: v_dual_sub_f32 v2, v184, v180
	v_add_f32_e32 v16, v165, v184
	v_fma_f32 v13, -0.5, v13, v165
	v_add_f32_e32 v14, v3, v185
	v_sub_f32_e32 v3, v15, v185
	v_add_f32_e32 v17, v181, v187
	v_dual_add_f32 v15, v16, v180 :: v_dual_fmamk_f32 v16, v2, 0xbf5db3d7, v12
	v_fmac_f32_e32 v12, 0x3f5db3d7, v2
	v_add_f32_e32 v2, v166, v181
	s_delay_alu instid0(VALU_DEP_4)
	v_fma_f32 v166, -0.5, v17, v166
	v_fmamk_f32 v17, v3, 0x3f5db3d7, v13
	v_fmac_f32_e32 v13, 0xbf5db3d7, v3
	v_add_f32_e32 v3, v186, v182
	v_dual_sub_f32 v21, v186, v182 :: v_dual_sub_f32 v22, v181, v187
	ds_store_b64 v24, v[0:1] offset:48
	v_add_f32_e32 v19, v18, v182
	v_dual_fmac_f32 v167, -0.5, v3 :: v_dual_fmamk_f32 v20, v21, 0xbf5db3d7, v166
	v_fmac_f32_e32 v166, 0x3f5db3d7, v21
	v_add_f32_e32 v18, v2, v187
	s_delay_alu instid0(VALU_DEP_3)
	v_dual_add_f32 v2, v5, v4 :: v_dual_fmamk_f32 v21, v22, 0x3f5db3d7, v167
	v_fmac_f32_e32 v167, 0xbf5db3d7, v22
	scratch_load_b32 v22, off, off offset:172 th:TH_LOAD_LU ; 4-byte Folded Reload
	v_add_f32_e32 v3, v7, v6
	v_fma_f32 v2, -0.5, v2, v222
	v_sub_f32_e32 v1, v6, v7
	v_sub_f32_e32 v23, v4, v5
	s_wait_loadcnt 0x0
	ds_store_2addr_b64 v22, v[10:11], v[8:9] offset1:3
	ds_store_b64 v22, v[170:171] offset:48
	scratch_load_b32 v8, off, off offset:168 th:TH_LOAD_LU ; 4-byte Folded Reload
	v_fma_f32 v3, -0.5, v3, v223
	v_fmamk_f32 v0, v1, 0xbf5db3d7, v2
	v_fmac_f32_e32 v2, 0x3f5db3d7, v1
	s_wait_loadcnt 0x0
	ds_store_2addr_b64 v8, v[14:15], v[16:17] offset1:3
	ds_store_b64 v8, v[12:13] offset:48
	scratch_load_b32 v8, off, off offset:164 th:TH_LOAD_LU ; 4-byte Folded Reload
	v_fmamk_f32 v1, v23, 0x3f5db3d7, v3
	v_fmac_f32_e32 v3, 0xbf5db3d7, v23
	s_wait_loadcnt 0x0
	ds_store_2addr_b64 v8, v[18:19], v[20:21] offset1:3
	ds_store_b64 v8, v[166:167] offset:48
	s_and_saveexec_b32 s1, vcc_lo
	s_cbranch_execz .LBB0_25
; %bb.24:
	scratch_load_b32 v8, off, off offset:160 th:TH_LOAD_LU ; 4-byte Folded Reload
	v_add_f32_e32 v4, v222, v4
	s_delay_alu instid0(VALU_DEP_1) | instskip(NEXT) | instid1(VALU_DEP_1)
	v_dual_add_f32 v6, v223, v6 :: v_dual_add_f32 v5, v5, v4
	v_add_f32_e32 v6, v7, v6
	s_wait_loadcnt 0x0
	v_and_b32_e32 v8, 0xffff, v8
	s_delay_alu instid0(VALU_DEP_1)
	v_lshlrev_b32_e32 v4, 3, v8
	ds_store_2addr_b64 v4, v[5:6], v[0:1] offset1:3
	ds_store_b64 v4, v[2:3] offset:48
.LBB0_25:
	s_wait_alu 0xfffe
	s_or_b32 exec_lo, exec_lo, s1
	v_add_nc_u32_e32 v4, 0x400, v255
	v_add_nc_u32_e32 v26, 0x1000, v255
	global_wb scope:SCOPE_SE
	s_wait_dscnt 0x0
	s_barrier_signal -1
	s_barrier_wait -1
	global_inv scope:SCOPE_SE
	ds_load_2addr_b64 v[4:7], v4 offset0:124 offset1:187
	v_add_nc_u32_e32 v28, 0x1800, v255
	ds_load_2addr_b64 v[14:17], v255 offset1:63
	ds_load_2addr_b64 v[18:21], v26 offset0:118 offset1:181
	v_add_nc_u32_e32 v8, 0x2400, v255
	v_add_nc_u32_e32 v29, 0x800, v255
	;; [unrolled: 1-line block ×3, first 2 shown]
	ds_load_2addr_b64 v[22:25], v28 offset0:114 offset1:177
	v_add_nc_u32_e32 v30, 0x1400, v255
	ds_load_2addr_b64 v[10:13], v255 offset0:126 offset1:189
	v_add_nc_u32_e32 v36, 0x2800, v255
	ds_load_2addr_b64 v[164:167], v8 offset0:108 offset1:171
	ds_load_b64 v[38:39], v255 offset:12096
	ds_load_2addr_b64 v[168:171], v29 offset0:122 offset1:185
	ds_load_2addr_b64 v[172:175], v9 offset0:112 offset1:175
	;; [unrolled: 1-line block ×4, first 2 shown]
	v_add_nc_u32_e32 v27, 0xc00, v255
	v_add_nc_u32_e32 v31, 0x2000, v255
	s_wait_dscnt 0xa
	v_mul_f32_e32 v8, v45, v7
	v_mul_f32_e32 v9, v45, v6
	s_wait_dscnt 0x7
	v_mul_f32_e32 v37, v41, v24
	s_delay_alu instid0(VALU_DEP_2)
	v_fma_f32 v7, v44, v7, -v9
	s_wait_dscnt 0x5
	v_dual_mul_f32 v9, v43, v164 :: v_dual_fmac_f32 v8, v44, v6
	v_mul_f32_e32 v6, v47, v18
	s_wait_dscnt 0x3
	v_dual_mul_f32 v44, v33, v169 :: v_dual_mul_f32 v45, v47, v19
	v_mul_f32_e32 v47, v41, v25
	v_fma_f32 v41, v42, v165, -v9
	v_fma_f32 v6, v46, v19, -v6
	s_delay_alu instid0(VALU_DEP_4) | instskip(NEXT) | instid1(VALU_DEP_4)
	v_dual_fmac_f32 v44, v32, v168 :: v_dual_fmac_f32 v45, v46, v18
	v_fmac_f32_e32 v47, v40, v24
	v_fma_f32 v40, v40, v25, -v37
	v_mul_f32_e32 v25, v43, v165
	v_mul_f32_e32 v46, v35, v21
	;; [unrolled: 1-line block ×3, first 2 shown]
	ds_load_2addr_b64 v[184:187], v27 offset0:120 offset1:183
	ds_load_2addr_b64 v[188:191], v31 offset0:110 offset1:173
	s_wait_dscnt 0x4
	v_mul_f32_e32 v165, v49, v173
	v_fmac_f32_e32 v25, v42, v164
	v_fmac_f32_e32 v46, v34, v20
	v_fma_f32 v164, v32, v169, -v18
	v_dual_mul_f32 v18, v49, v172 :: v_dual_mul_f32 v19, v51, v166
	v_dual_mul_f32 v42, v51, v167 :: v_dual_fmac_f32 v165, v48, v172
	v_mul_f32_e32 v9, v35, v20
	v_mul_f32_e32 v51, v89, v171
	s_delay_alu instid0(VALU_DEP_4)
	v_fma_f32 v48, v48, v173, -v18
	s_wait_dscnt 0x3
	v_mul_f32_e32 v18, v91, v176
	v_fmac_f32_e32 v42, v50, v166
	v_fma_f32 v49, v34, v21, -v9
	v_mul_f32_e32 v9, v89, v170
	v_mul_f32_e32 v89, v91, v177
	v_dual_fmac_f32 v51, v88, v170 :: v_dual_mul_f32 v166, v83, v179
	v_mul_f32_e32 v91, v85, v175
	s_delay_alu instid0(VALU_DEP_3)
	v_dual_mul_f32 v34, v75, v23 :: v_dual_fmac_f32 v89, v90, v176
	v_fma_f32 v90, v90, v177, -v18
	s_wait_dscnt 0x2
	v_mul_f32_e32 v18, v87, v180
	v_fma_f32 v88, v88, v171, -v9
	v_mul_f32_e32 v9, v85, v174
	v_dual_mul_f32 v85, v87, v181 :: v_dual_fmac_f32 v34, v74, v22
	s_wait_dscnt 0x1
	v_dual_mul_f32 v87, v81, v185 :: v_dual_mul_f32 v20, v75, v22
	v_fmac_f32_e32 v166, v82, v178
	v_fmac_f32_e32 v91, v84, v174
	v_fma_f32 v50, v50, v167, -v19
	v_dual_mul_f32 v19, v81, v184 :: v_dual_sub_f32 v22, v8, v45
	v_fma_f32 v33, v74, v23, -v20
	v_add_f32_e32 v20, v14, v8
	v_fma_f32 v81, v84, v175, -v9
	v_fma_f32 v84, v86, v181, -v18
	s_wait_dscnt 0x0
	v_mul_f32_e32 v18, v77, v188
	v_fmac_f32_e32 v85, v86, v180
	v_fma_f32 v86, v80, v185, -v19
	v_mul_f32_e32 v19, v73, v186
	v_add_f32_e32 v43, v8, v25
	v_fma_f32 v167, v76, v189, -v18
	v_mul_f32_e32 v18, v79, v182
	v_dual_mul_f32 v9, v83, v178 :: v_dual_sub_f32 v24, v25, v47
	v_fma_f32 v32, v72, v187, -v19
	v_sub_f32_e32 v23, v6, v40
	s_delay_alu instid0(VALU_DEP_4)
	v_fma_f32 v168, v78, v183, -v18
	v_add_f32_e32 v18, v45, v47
	v_mul_f32_e32 v19, v69, v190
	v_fma_f32 v82, v82, v179, -v9
	v_mul_f32_e32 v83, v77, v189
	v_mul_f32_e32 v77, v79, v183
	v_fma_f32 v18, -0.5, v18, v14
	v_fma_f32 v14, -0.5, v43, v14
	v_sub_f32_e32 v21, v7, v41
	v_fmac_f32_e32 v87, v80, v184
	v_mul_f32_e32 v9, v73, v187
	v_mul_f32_e32 v37, v69, v191
	v_fma_f32 v35, v68, v191, -v19
	v_dual_add_f32 v19, v20, v45 :: v_dual_fmamk_f32 v20, v21, 0xbf737871, v18
	s_delay_alu instid0(VALU_DEP_4) | instskip(SKIP_1) | instid1(VALU_DEP_3)
	v_dual_fmac_f32 v18, 0x3f737871, v21 :: v_dual_fmac_f32 v9, v72, v186
	v_mul_f32_e32 v169, v71, v39
	v_add_f32_e32 v19, v19, v47
	v_add_f32_e32 v43, v15, v7
	s_delay_alu instid0(VALU_DEP_4) | instskip(SKIP_4) | instid1(VALU_DEP_3)
	v_dual_fmac_f32 v18, 0x3f167918, v23 :: v_dual_fmac_f32 v37, v68, v190
	v_add_f32_e32 v68, v22, v24
	v_dual_fmamk_f32 v22, v23, 0x3f737871, v14 :: v_dual_fmac_f32 v77, v78, v182
	v_dual_add_f32 v24, v19, v25 :: v_dual_sub_f32 v19, v45, v8
	v_fmac_f32_e32 v14, 0xbf737871, v23
	v_fmac_f32_e32 v22, 0xbf167918, v21
	v_dual_sub_f32 v8, v8, v25 :: v_dual_fmac_f32 v169, v70, v38
	v_dual_mul_f32 v38, v71, v38 :: v_dual_add_f32 v69, v6, v40
	s_delay_alu instid0(VALU_DEP_4) | instskip(SKIP_1) | instid1(VALU_DEP_3)
	v_dual_fmac_f32 v14, 0x3f167918, v21 :: v_dual_fmac_f32 v83, v76, v188
	v_fmac_f32_e32 v20, 0xbf167918, v23
	v_fma_f32 v38, v70, v39, -v38
	v_sub_f32_e32 v39, v47, v25
	v_add_f32_e32 v23, v43, v6
	v_add_f32_e32 v25, v7, v41
	v_sub_f32_e32 v43, v45, v47
	v_dual_sub_f32 v45, v7, v6 :: v_dual_sub_f32 v6, v6, v7
	v_dual_sub_f32 v7, v40, v41 :: v_dual_fmac_f32 v20, 0x3e9e377a, v68
	v_fmac_f32_e32 v18, 0x3e9e377a, v68
	v_dual_add_f32 v68, v44, v42 :: v_dual_add_f32 v23, v23, v40
	s_delay_alu instid0(VALU_DEP_3)
	v_add_f32_e32 v6, v6, v7
	v_add_f32_e32 v39, v19, v39
	v_fma_f32 v19, -0.5, v69, v15
	v_sub_f32_e32 v47, v41, v40
	v_fma_f32 v15, -0.5, v25, v15
	v_add_f32_e32 v7, v16, v44
	v_add_f32_e32 v25, v23, v41
	v_fmamk_f32 v21, v8, 0x3f737871, v19
	v_fmac_f32_e32 v19, 0xbf737871, v8
	v_add_f32_e32 v45, v45, v47
	v_fmamk_f32 v23, v43, 0xbf737871, v15
	v_fmac_f32_e32 v15, 0x3f737871, v43
	v_fmac_f32_e32 v21, 0x3f167918, v43
	;; [unrolled: 1-line block ×3, first 2 shown]
	v_dual_add_f32 v7, v7, v46 :: v_dual_fmac_f32 v22, 0x3e9e377a, v39
	s_delay_alu instid0(VALU_DEP_3)
	v_dual_fmac_f32 v14, 0x3e9e377a, v39 :: v_dual_fmac_f32 v21, 0x3e9e377a, v45
	v_add_f32_e32 v39, v46, v165
	v_fmac_f32_e32 v23, 0x3f167918, v8
	v_fmac_f32_e32 v19, 0x3e9e377a, v45
	v_sub_f32_e32 v43, v44, v46
	v_sub_f32_e32 v45, v42, v165
	v_dual_fmac_f32 v15, 0xbf167918, v8 :: v_dual_add_f32 v70, v51, v85
	v_add_f32_e32 v7, v7, v165
	v_fma_f32 v39, -0.5, v39, v16
	s_delay_alu instid0(VALU_DEP_4)
	v_dual_fmac_f32 v23, 0x3e9e377a, v6 :: v_dual_add_f32 v8, v43, v45
	v_fma_f32 v16, -0.5, v68, v16
	v_fmac_f32_e32 v15, 0x3e9e377a, v6
	v_dual_add_f32 v43, v7, v42 :: v_dual_sub_f32 v6, v46, v44
	v_sub_f32_e32 v7, v165, v42
	v_add_f32_e32 v68, v17, v164
	v_sub_f32_e32 v40, v49, v48
	v_add_f32_e32 v69, v49, v48
	s_delay_alu instid0(VALU_DEP_4) | instskip(NEXT) | instid1(VALU_DEP_4)
	v_dual_sub_f32 v73, v88, v90 :: v_dual_add_f32 v6, v6, v7
	v_add_f32_e32 v7, v68, v49
	v_sub_f32_e32 v68, v44, v42
	v_sub_f32_e32 v47, v164, v50
	;; [unrolled: 1-line block ×3, first 2 shown]
	v_fmamk_f32 v45, v40, 0x3f737871, v16
	v_fmac_f32_e32 v16, 0xbf737871, v40
	v_add_f32_e32 v7, v7, v48
	v_fmamk_f32 v41, v47, 0xbf737871, v39
	v_fmac_f32_e32 v39, 0x3f737871, v47
	v_fmac_f32_e32 v45, 0xbf167918, v47
	v_dual_fmac_f32 v16, 0x3f167918, v47 :: v_dual_sub_f32 v47, v50, v48
	s_delay_alu instid0(VALU_DEP_4) | instskip(NEXT) | instid1(VALU_DEP_4)
	v_fmac_f32_e32 v41, 0xbf167918, v40
	v_fmac_f32_e32 v39, 0x3f167918, v40
	v_fma_f32 v40, -0.5, v69, v17
	v_sub_f32_e32 v69, v46, v165
	s_delay_alu instid0(VALU_DEP_4) | instskip(NEXT) | instid1(VALU_DEP_4)
	v_dual_sub_f32 v46, v164, v49 :: v_dual_fmac_f32 v41, 0x3e9e377a, v8
	v_dual_fmac_f32 v39, 0x3e9e377a, v8 :: v_dual_add_f32 v8, v164, v50
	s_delay_alu instid0(VALU_DEP_4)
	v_fmamk_f32 v42, v68, 0x3f737871, v40
	v_add_f32_e32 v44, v7, v50
	v_fmac_f32_e32 v40, 0xbf737871, v68
	v_sub_f32_e32 v7, v49, v164
	v_dual_fmac_f32 v17, -0.5, v8 :: v_dual_sub_f32 v8, v48, v50
	v_fmac_f32_e32 v45, 0x3e9e377a, v6
	v_fmac_f32_e32 v16, 0x3e9e377a, v6
	;; [unrolled: 1-line block ×3, first 2 shown]
	v_add_f32_e32 v6, v46, v47
	v_dual_fmac_f32 v40, 0xbf167918, v69 :: v_dual_add_f32 v7, v7, v8
	v_add_f32_e32 v8, v10, v51
	v_fmamk_f32 v46, v69, 0xbf737871, v17
	s_delay_alu instid0(VALU_DEP_4) | instskip(NEXT) | instid1(VALU_DEP_4)
	v_fmac_f32_e32 v42, 0x3e9e377a, v6
	v_fmac_f32_e32 v40, 0x3e9e377a, v6
	;; [unrolled: 1-line block ×3, first 2 shown]
	v_add_f32_e32 v6, v8, v89
	v_fmac_f32_e32 v46, 0x3f167918, v68
	v_sub_f32_e32 v8, v90, v81
	v_sub_f32_e32 v50, v88, v84
	s_delay_alu instid0(VALU_DEP_4) | instskip(SKIP_2) | instid1(VALU_DEP_3)
	v_dual_fmac_f32 v17, 0xbf167918, v68 :: v_dual_add_f32 v6, v6, v91
	v_fma_f32 v68, -0.5, v70, v10
	v_fmac_f32_e32 v46, 0x3e9e377a, v7
	v_dual_sub_f32 v48, v51, v89 :: v_dual_fmac_f32 v17, 0x3e9e377a, v7
	s_delay_alu instid0(VALU_DEP_4) | instskip(NEXT) | instid1(VALU_DEP_4)
	v_add_f32_e32 v70, v6, v85
	v_fmamk_f32 v72, v8, 0x3f737871, v68
	v_dual_sub_f32 v6, v89, v51 :: v_dual_sub_f32 v7, v91, v85
	v_dual_fmac_f32 v68, 0xbf737871, v8 :: v_dual_sub_f32 v75, v77, v83
	s_delay_alu instid0(VALU_DEP_3) | instskip(SKIP_1) | instid1(VALU_DEP_4)
	v_fmac_f32_e32 v72, 0xbf167918, v50
	v_add_f32_e32 v78, v87, v77
	v_add_f32_e32 v6, v6, v7
	s_delay_alu instid0(VALU_DEP_4)
	v_fmac_f32_e32 v68, 0x3f167918, v50
	global_wb scope:SCOPE_SE
	s_barrier_signal -1
	s_barrier_wait -1
	v_fmac_f32_e32 v72, 0x3e9e377a, v6
	v_fmac_f32_e32 v68, 0x3e9e377a, v6
	v_add_f32_e32 v6, v73, v74
	v_sub_f32_e32 v69, v85, v91
	global_inv scope:SCOPE_SE
	v_add_f32_e32 v69, v48, v69
	v_add_f32_e32 v48, v90, v81
	s_delay_alu instid0(VALU_DEP_1) | instskip(SKIP_1) | instid1(VALU_DEP_1)
	v_fma_f32 v48, -0.5, v48, v11
	v_add_f32_e32 v47, v89, v91
	v_fma_f32 v47, -0.5, v47, v10
	s_delay_alu instid0(VALU_DEP_1) | instskip(SKIP_1) | instid1(VALU_DEP_2)
	v_dual_add_f32 v10, v11, v88 :: v_dual_fmamk_f32 v49, v50, 0xbf737871, v47
	v_fmac_f32_e32 v47, 0x3f737871, v50
	v_dual_add_f32 v7, v10, v90 :: v_dual_add_f32 v10, v88, v84
	s_delay_alu instid0(VALU_DEP_3) | instskip(NEXT) | instid1(VALU_DEP_3)
	v_fmac_f32_e32 v49, 0xbf167918, v8
	v_dual_fmac_f32 v47, 0x3f167918, v8 :: v_dual_sub_f32 v8, v51, v85
	v_sub_f32_e32 v85, v9, v169
	s_delay_alu instid0(VALU_DEP_3) | instskip(NEXT) | instid1(VALU_DEP_3)
	v_fmac_f32_e32 v49, 0x3e9e377a, v69
	v_fmac_f32_e32 v47, 0x3e9e377a, v69
	v_fma_f32 v69, -0.5, v10, v11
	v_dual_add_f32 v11, v166, v83 :: v_dual_fmamk_f32 v50, v8, 0x3f737871, v48
	v_fmac_f32_e32 v48, 0xbf737871, v8
	v_sub_f32_e32 v10, v81, v84
	s_delay_alu instid0(VALU_DEP_3) | instskip(SKIP_1) | instid1(VALU_DEP_1)
	v_fma_f32 v74, -0.5, v11, v12
	v_sub_f32_e32 v11, v86, v168
	v_fmamk_f32 v76, v11, 0xbf737871, v74
	v_dual_fmac_f32 v74, 0x3f737871, v11 :: v_dual_add_f32 v7, v7, v81
	v_sub_f32_e32 v51, v89, v91
	v_sub_f32_e32 v81, v168, v167
	s_delay_alu instid0(VALU_DEP_3) | instskip(NEXT) | instid1(VALU_DEP_3)
	v_add_f32_e32 v71, v7, v84
	v_dual_sub_f32 v7, v90, v88 :: v_dual_fmac_f32 v50, 0x3f167918, v51
	v_fmac_f32_e32 v48, 0xbf167918, v51
	s_delay_alu instid0(VALU_DEP_2) | instskip(SKIP_1) | instid1(VALU_DEP_4)
	v_dual_add_f32 v84, v9, v169 :: v_dual_add_f32 v7, v7, v10
	v_add_f32_e32 v10, v12, v87
	v_fmac_f32_e32 v50, 0x3e9e377a, v6
	s_delay_alu instid0(VALU_DEP_4) | instskip(SKIP_1) | instid1(VALU_DEP_4)
	v_fmac_f32_e32 v48, 0x3e9e377a, v6
	v_fma_f32 v12, -0.5, v78, v12
	v_add_f32_e32 v6, v10, v166
	v_sub_f32_e32 v10, v82, v167
	s_delay_alu instid0(VALU_DEP_2) | instskip(NEXT) | instid1(VALU_DEP_2)
	v_add_f32_e32 v6, v6, v83
	v_fmac_f32_e32 v74, 0x3f167918, v10
	v_fmamk_f32 v73, v51, 0xbf737871, v69
	v_fmac_f32_e32 v69, 0x3f737871, v51
	v_dual_sub_f32 v51, v87, v166 :: v_dual_fmamk_f32 v80, v10, 0x3f737871, v12
	v_fmac_f32_e32 v12, 0xbf737871, v10
	s_delay_alu instid0(VALU_DEP_4) | instskip(NEXT) | instid1(VALU_DEP_3)
	v_fmac_f32_e32 v73, 0x3f167918, v8
	v_dual_fmac_f32 v69, 0xbf167918, v8 :: v_dual_add_f32 v8, v51, v75
	v_add_f32_e32 v78, v6, v77
	v_dual_sub_f32 v6, v166, v87 :: v_dual_add_f32 v51, v13, v86
	s_delay_alu instid0(VALU_DEP_3)
	v_fmac_f32_e32 v69, 0x3e9e377a, v7
	v_fmac_f32_e32 v12, 0x3f167918, v11
	;; [unrolled: 1-line block ×3, first 2 shown]
	v_dual_sub_f32 v7, v83, v77 :: v_dual_fmac_f32 v76, 0xbf167918, v10
	v_add_f32_e32 v75, v82, v167
	v_fmac_f32_e32 v80, 0xbf167918, v11
	v_fmac_f32_e32 v74, 0x3e9e377a, v8
	s_delay_alu instid0(VALU_DEP_4)
	v_dual_add_f32 v6, v6, v7 :: v_dual_add_f32 v7, v51, v82
	v_fmac_f32_e32 v76, 0x3e9e377a, v8
	v_add_f32_e32 v8, v86, v168
	v_sub_f32_e32 v51, v86, v82
	v_fma_f32 v75, -0.5, v75, v13
	v_add_f32_e32 v7, v7, v167
	v_sub_f32_e32 v10, v87, v77
	v_dual_fmac_f32 v80, 0x3e9e377a, v6 :: v_dual_sub_f32 v11, v166, v83
	s_delay_alu instid0(VALU_DEP_3)
	v_dual_fmac_f32 v12, 0x3e9e377a, v6 :: v_dual_add_f32 v79, v7, v168
	v_dual_add_f32 v7, v51, v81 :: v_dual_sub_f32 v6, v82, v86
	v_add_f32_e32 v51, v34, v37
	v_sub_f32_e32 v83, v169, v37
	v_fmac_f32_e32 v13, -0.5, v8
	v_sub_f32_e32 v8, v167, v168
	s_delay_alu instid0(VALU_DEP_1)
	v_dual_fmamk_f32 v81, v11, 0xbf737871, v13 :: v_dual_add_f32 v82, v6, v8
	v_add_f32_e32 v8, v4, v9
	v_fma_f32 v6, -0.5, v51, v4
	v_sub_f32_e32 v51, v33, v35
	v_fma_f32 v4, -0.5, v84, v4
	v_fmamk_f32 v77, v10, 0x3f737871, v75
	v_fmac_f32_e32 v75, 0xbf737871, v10
	v_dual_fmac_f32 v13, 0x3f737871, v11 :: v_dual_sub_f32 v84, v37, v169
	s_delay_alu instid0(VALU_DEP_3) | instskip(NEXT) | instid1(VALU_DEP_3)
	v_fmac_f32_e32 v77, 0x3f167918, v11
	v_fmac_f32_e32 v75, 0xbf167918, v11
	v_sub_f32_e32 v11, v32, v38
	v_fmac_f32_e32 v81, 0x3f167918, v10
	v_fmac_f32_e32 v13, 0xbf167918, v10
	v_fmac_f32_e32 v77, 0x3e9e377a, v7
	v_fmac_f32_e32 v75, 0x3e9e377a, v7
	v_dual_add_f32 v7, v8, v34 :: v_dual_fmamk_f32 v8, v11, 0xbf737871, v6
	v_sub_f32_e32 v10, v9, v34
	v_fmac_f32_e32 v6, 0x3f737871, v11
	v_fmac_f32_e32 v13, 0x3e9e377a, v82
	s_delay_alu instid0(VALU_DEP_4) | instskip(NEXT) | instid1(VALU_DEP_4)
	v_dual_add_f32 v7, v7, v37 :: v_dual_fmac_f32 v8, 0xbf167918, v51
	v_add_f32_e32 v10, v10, v83
	s_delay_alu instid0(VALU_DEP_4) | instskip(SKIP_1) | instid1(VALU_DEP_3)
	v_dual_fmac_f32 v6, 0x3f167918, v51 :: v_dual_sub_f32 v83, v34, v9
	v_sub_f32_e32 v34, v34, v37
	v_fmac_f32_e32 v8, 0x3e9e377a, v10
	s_delay_alu instid0(VALU_DEP_3) | instskip(SKIP_2) | instid1(VALU_DEP_2)
	v_fmac_f32_e32 v6, 0x3e9e377a, v10
	v_fmamk_f32 v10, v51, 0x3f737871, v4
	v_dual_fmac_f32 v4, 0xbf737871, v51 :: v_dual_add_f32 v51, v5, v32
	v_dual_add_f32 v83, v83, v84 :: v_dual_fmac_f32 v10, 0xbf167918, v11
	s_delay_alu instid0(VALU_DEP_1) | instskip(NEXT) | instid1(VALU_DEP_3)
	v_fmac_f32_e32 v10, 0x3e9e377a, v83
	v_fmac_f32_e32 v4, 0x3f167918, v11
	v_dual_fmac_f32 v81, 0x3e9e377a, v82 :: v_dual_add_f32 v82, v7, v169
	v_add_f32_e32 v7, v33, v35
	s_delay_alu instid0(VALU_DEP_3) | instskip(SKIP_2) | instid1(VALU_DEP_4)
	v_dual_add_f32 v11, v51, v33 :: v_dual_fmac_f32 v4, 0x3e9e377a, v83
	v_add_f32_e32 v51, v32, v38
	v_sub_f32_e32 v83, v38, v35
	v_fma_f32 v7, -0.5, v7, v5
	s_delay_alu instid0(VALU_DEP_4) | instskip(NEXT) | instid1(VALU_DEP_4)
	v_add_f32_e32 v37, v11, v35
	v_fmac_f32_e32 v5, -0.5, v51
	v_dual_sub_f32 v51, v32, v33 :: v_dual_sub_f32 v32, v33, v32
	v_sub_f32_e32 v33, v35, v38
	v_fmamk_f32 v9, v85, 0x3f737871, v7
	s_delay_alu instid0(VALU_DEP_4) | instskip(SKIP_2) | instid1(VALU_DEP_4)
	v_fmamk_f32 v11, v34, 0xbf737871, v5
	v_fmac_f32_e32 v5, 0x3f737871, v34
	v_fmac_f32_e32 v7, 0xbf737871, v85
	v_dual_add_f32 v32, v32, v33 :: v_dual_fmac_f32 v9, 0x3f167918, v34
	s_delay_alu instid0(VALU_DEP_4) | instskip(NEXT) | instid1(VALU_DEP_4)
	v_fmac_f32_e32 v11, 0x3f167918, v85
	v_fmac_f32_e32 v5, 0xbf167918, v85
	v_add_f32_e32 v35, v51, v83
	v_fmac_f32_e32 v7, 0xbf167918, v34
	v_add_f32_e32 v83, v37, v38
	v_fmac_f32_e32 v11, 0x3e9e377a, v32
	v_fmac_f32_e32 v5, 0x3e9e377a, v32
	scratch_load_b32 v32, off, off offset:228 th:TH_LOAD_LU ; 4-byte Folded Reload
	v_fmac_f32_e32 v9, 0x3e9e377a, v35
	v_fmac_f32_e32 v7, 0x3e9e377a, v35
	s_wait_loadcnt 0x0
	ds_store_2addr_b64 v32, v[24:25], v[20:21] offset1:9
	ds_store_2addr_b64 v32, v[22:23], v[14:15] offset0:18 offset1:27
	ds_store_b64 v32, v[18:19] offset:288
	scratch_load_b32 v14, off, off offset:232 th:TH_LOAD_LU ; 4-byte Folded Reload
	s_wait_loadcnt 0x0
	ds_store_2addr_b64 v14, v[43:44], v[41:42] offset1:9
	ds_store_2addr_b64 v14, v[45:46], v[16:17] offset0:18 offset1:27
	ds_store_b64 v14, v[39:40] offset:288
	scratch_load_b32 v14, off, off offset:236 th:TH_LOAD_LU ; 4-byte Folded Reload
	;; [unrolled: 5-line block ×4, first 2 shown]
	s_wait_loadcnt 0x0
	ds_store_2addr_b64 v12, v[82:83], v[8:9] offset1:9
	ds_store_2addr_b64 v12, v[10:11], v[4:5] offset0:18 offset1:27
	ds_store_b64 v12, v[6:7] offset:288
	global_wb scope:SCOPE_SE
	s_wait_dscnt 0x0
	s_barrier_signal -1
	s_barrier_wait -1
	global_inv scope:SCOPE_SE
	ds_load_2addr_b64 v[16:19], v255 offset1:63
	ds_load_2addr_b64 v[12:15], v255 offset0:126 offset1:225
	ds_load_2addr_b64 v[48:51], v27 offset0:66 offset1:129
	;; [unrolled: 1-line block ×9, first 2 shown]
	ds_load_b64 v[68:69], v255 offset:11808
	s_and_saveexec_b32 s1, s0
	s_cbranch_execz .LBB0_27
; %bb.26:
	v_add_nc_u32_e32 v0, 0x500, v255
	v_add_nc_u32_e32 v1, 0x1380, v255
	;; [unrolled: 1-line block ×3, first 2 shown]
	ds_load_2addr_b64 v[8:11], v0 offset0:29 offset1:254
	ds_load_2addr_b64 v[4:7], v1 offset0:15 offset1:240
	;; [unrolled: 1-line block ×3, first 2 shown]
	ds_load_b64 v[220:221], v255 offset:12312
.LBB0_27:
	s_wait_alu 0xfffe
	s_or_b32 exec_lo, exec_lo, s1
	s_wait_dscnt 0x8
	v_dual_mul_f32 v70, v65, v15 :: v_dual_mul_f32 v71, v67, v49
	v_mul_f32_e32 v65, v65, v14
	s_wait_dscnt 0x7
	v_dual_mul_f32 v67, v67, v48 :: v_dual_mul_f32 v72, v113, v27
	s_delay_alu instid0(VALU_DEP_3) | instskip(SKIP_1) | instid1(VALU_DEP_3)
	v_dual_fmac_f32 v70, v64, v14 :: v_dual_fmac_f32 v71, v66, v48
	v_mul_f32_e32 v14, v113, v26
	v_fma_f32 v48, v66, v49, -v67
	s_wait_dscnt 0x5
	v_dual_fmac_f32 v72, v112, v26 :: v_dual_mul_f32 v49, v117, v23
	v_mul_f32_e32 v26, v115, v45
	v_fma_f32 v15, v64, v15, -v65
	v_fma_f32 v14, v112, v27, -v14
	v_dual_mul_f32 v27, v115, v44 :: v_dual_mul_f32 v64, v117, v22
	s_wait_dscnt 0x4
	v_dual_mul_f32 v65, v119, v37 :: v_dual_fmac_f32 v26, v114, v44
	v_fmac_f32_e32 v49, v116, v22
	s_delay_alu instid0(VALU_DEP_3) | instskip(SKIP_1) | instid1(VALU_DEP_4)
	v_fma_f32 v27, v114, v45, -v27
	v_fma_f32 v22, v116, v23, -v64
	v_fmac_f32_e32 v65, v118, v36
	s_wait_dscnt 0x3
	v_dual_mul_f32 v23, v119, v36 :: v_dual_mul_f32 v36, v109, v41
	v_dual_mul_f32 v44, v109, v40 :: v_dual_mul_f32 v45, v111, v51
	v_mul_f32_e32 v64, v111, v50
	s_wait_dscnt 0x0
	v_dual_mul_f32 v74, v121, v31 :: v_dual_mul_f32 v75, v123, v69
	s_delay_alu instid0(VALU_DEP_3) | instskip(NEXT) | instid1(VALU_DEP_3)
	v_dual_fmac_f32 v36, v108, v40 :: v_dual_fmac_f32 v45, v110, v50
	v_fma_f32 v40, v110, v51, -v64
	v_dual_mul_f32 v51, v99, v46 :: v_dual_mul_f32 v64, v93, v29
	v_fma_f32 v23, v118, v37, -v23
	v_fma_f32 v37, v108, v41, -v44
	v_mul_f32_e32 v41, v97, v33
	v_mul_f32_e32 v44, v97, v32
	;; [unrolled: 1-line block ×3, first 2 shown]
	v_fmac_f32_e32 v64, v92, v28
	v_dual_fmac_f32 v74, v120, v30 :: v_dual_fmac_f32 v75, v122, v68
	v_fmac_f32_e32 v41, v96, v32
	v_fma_f32 v32, v96, v33, -v44
	v_fmac_f32_e32 v50, v98, v46
	v_fma_f32 v33, v98, v47, -v51
	v_mul_f32_e32 v47, v101, v43
	v_mul_f32_e32 v28, v93, v28
	v_dual_mul_f32 v44, v95, v39 :: v_dual_mul_f32 v51, v101, v42
	global_wb scope:SCOPE_SE
	v_fmac_f32_e32 v47, v100, v42
	v_fma_f32 v66, v92, v29, -v28
	v_mul_f32_e32 v29, v105, v34
	v_fmac_f32_e32 v44, v94, v38
	v_fma_f32 v42, v100, v43, -v51
	v_mul_f32_e32 v43, v103, v25
	v_mul_f32_e32 v46, v95, v38
	;; [unrolled: 1-line block ×4, first 2 shown]
	v_fma_f32 v73, v104, v35, -v29
	v_fmac_f32_e32 v43, v102, v24
	v_fma_f32 v38, v94, v39, -v46
	v_mul_f32_e32 v46, v105, v35
	v_fma_f32 v67, v102, v25, -v28
	v_fmac_f32_e32 v51, v106, v20
	v_dual_mul_f32 v20, v107, v20 :: v_dual_add_f32 v29, v72, v26
	s_delay_alu instid0(VALU_DEP_4) | instskip(SKIP_1) | instid1(VALU_DEP_3)
	v_fmac_f32_e32 v46, v104, v34
	v_dual_mul_f32 v24, v121, v30 :: v_dual_mul_f32 v25, v123, v68
	v_fma_f32 v76, v106, v21, -v20
	v_dual_add_f32 v20, v70, v65 :: v_dual_add_f32 v21, v15, v23
	s_delay_alu instid0(VALU_DEP_3) | instskip(NEXT) | instid1(VALU_DEP_4)
	v_fma_f32 v77, v120, v31, -v24
	v_fma_f32 v68, v122, v69, -v25
	v_dual_sub_f32 v24, v70, v65 :: v_dual_sub_f32 v15, v15, v23
	v_add_f32_e32 v23, v71, v49
	v_add_f32_e32 v25, v48, v22
	v_sub_f32_e32 v22, v48, v22
	v_add_f32_e32 v30, v14, v27
	v_sub_f32_e32 v26, v26, v72
	s_delay_alu instid0(VALU_DEP_4)
	v_dual_sub_f32 v14, v27, v14 :: v_dual_sub_f32 v35, v25, v21
	v_add_f32_e32 v27, v23, v20
	v_sub_f32_e32 v28, v71, v49
	v_add_f32_e32 v31, v25, v21
	v_dual_sub_f32 v21, v21, v30 :: v_dual_sub_f32 v34, v23, v20
	v_dual_sub_f32 v23, v29, v23 :: v_dual_sub_f32 v20, v20, v29
	s_delay_alu instid0(VALU_DEP_4) | instskip(SKIP_4) | instid1(VALU_DEP_3)
	v_add_f32_e32 v39, v26, v28
	v_sub_f32_e32 v25, v30, v25
	v_dual_add_f32 v48, v14, v22 :: v_dual_add_f32 v27, v29, v27
	v_sub_f32_e32 v65, v14, v22
	v_add_f32_e32 v29, v30, v31
	v_dual_sub_f32 v49, v26, v28 :: v_dual_add_f32 v30, v48, v15
	v_sub_f32_e32 v26, v24, v26
	v_dual_sub_f32 v69, v15, v14 :: v_dual_sub_f32 v22, v22, v15
	v_sub_f32_e32 v28, v28, v24
	v_add_f32_e32 v24, v39, v24
	v_dual_add_f32 v14, v16, v27 :: v_dual_add_f32 v15, v17, v29
	v_dual_mul_f32 v16, 0x3f4a47b2, v20 :: v_dual_mul_f32 v17, 0x3f4a47b2, v21
	v_dual_mul_f32 v20, 0x3d64c772, v23 :: v_dual_mul_f32 v21, 0x3d64c772, v25
	v_mul_f32_e32 v39, 0x3f08b237, v65
	v_mul_f32_e32 v48, 0xbf5ff5aa, v28
	s_delay_alu instid0(VALU_DEP_4)
	v_fmamk_f32 v25, v25, 0x3d64c772, v17
	v_fma_f32 v17, 0xbf3bfb3b, v35, -v17
	v_fma_f32 v21, 0x3f3bfb3b, v35, -v21
	v_fmamk_f32 v35, v69, 0xbeae86e6, v39
	v_fmamk_f32 v27, v27, 0xbf955555, v14
	v_fma_f32 v20, 0x3f3bfb3b, v34, -v20
	s_barrier_signal -1
	s_barrier_wait -1
	v_fmac_f32_e32 v35, 0xbee1c552, v30
	v_fmamk_f32 v23, v23, 0x3d64c772, v16
	v_mul_f32_e32 v31, 0x3f08b237, v49
	v_mul_f32_e32 v49, 0xbf5ff5aa, v22
	v_fma_f32 v16, 0xbf3bfb3b, v34, -v16
	global_inv scope:SCOPE_SE
	v_fmamk_f32 v34, v26, 0xbeae86e6, v31
	v_fma_f32 v28, 0xbf5ff5aa, v28, -v31
	v_fma_f32 v31, 0xbf5ff5aa, v22, -v39
	;; [unrolled: 1-line block ×4, first 2 shown]
	s_delay_alu instid0(VALU_DEP_3) | instskip(NEXT) | instid1(VALU_DEP_2)
	v_dual_fmac_f32 v28, 0xbee1c552, v24 :: v_dual_fmac_f32 v31, 0xbee1c552, v30
	v_dual_fmac_f32 v39, 0xbee1c552, v24 :: v_dual_fmac_f32 v26, 0xbee1c552, v30
	v_dual_fmamk_f32 v29, v29, 0xbf955555, v15 :: v_dual_add_f32 v30, v36, v44
	s_delay_alu instid0(VALU_DEP_1) | instskip(SKIP_1) | instid1(VALU_DEP_1)
	v_add_f32_e32 v49, v25, v29
	v_dual_add_f32 v25, v20, v27 :: v_dual_fmac_f32 v34, 0xbee1c552, v24
	v_sub_f32_e32 v22, v25, v31
	v_add_f32_e32 v48, v23, v27
	v_dual_add_f32 v27, v16, v27 :: v_dual_add_f32 v24, v31, v25
	s_delay_alu instid0(VALU_DEP_1) | instskip(SKIP_3) | instid1(VALU_DEP_3)
	v_dual_add_f32 v31, v37, v38 :: v_dual_add_f32 v20, v26, v27
	v_add_f32_e32 v65, v21, v29
	v_add_f32_e32 v29, v17, v29
	v_sub_f32_e32 v17, v49, v34
	v_dual_sub_f32 v26, v27, v26 :: v_dual_add_f32 v23, v28, v65
	s_delay_alu instid0(VALU_DEP_3)
	v_sub_f32_e32 v21, v29, v39
	v_add_f32_e32 v27, v39, v29
	v_dual_add_f32 v29, v34, v49 :: v_dual_sub_f32 v34, v36, v44
	v_add_f32_e32 v36, v45, v64
	v_dual_add_f32 v16, v35, v48 :: v_dual_sub_f32 v39, v40, v66
	v_add_f32_e32 v44, v32, v33
	v_sub_f32_e32 v32, v33, v32
	v_dual_sub_f32 v25, v65, v28 :: v_dual_sub_f32 v28, v48, v35
	v_sub_f32_e32 v35, v37, v38
	v_add_f32_e32 v37, v40, v66
	v_add_f32_e32 v40, v41, v50
	v_dual_add_f32 v33, v36, v30 :: v_dual_sub_f32 v38, v45, v64
	v_sub_f32_e32 v48, v36, v30
	s_delay_alu instid0(VALU_DEP_2) | instskip(SKIP_1) | instid1(VALU_DEP_2)
	v_dual_sub_f32 v30, v30, v40 :: v_dual_add_f32 v33, v40, v33
	v_dual_sub_f32 v41, v50, v41 :: v_dual_sub_f32 v36, v40, v36
	v_mul_f32_e32 v30, 0x3f4a47b2, v30
	s_delay_alu instid0(VALU_DEP_3)
	v_add_f32_e32 v18, v18, v33
	v_add_f32_e32 v64, v32, v39
	v_sub_f32_e32 v66, v32, v39
	v_dual_sub_f32 v32, v35, v32 :: v_dual_add_f32 v45, v37, v31
	v_dual_add_f32 v50, v41, v38 :: v_dual_sub_f32 v39, v39, v35
	v_sub_f32_e32 v65, v41, v38
	v_dual_sub_f32 v38, v38, v34 :: v_dual_sub_f32 v49, v37, v31
	s_delay_alu instid0(VALU_DEP_4) | instskip(SKIP_3) | instid1(VALU_DEP_4)
	v_add_f32_e32 v40, v44, v45
	v_sub_f32_e32 v37, v44, v37
	v_sub_f32_e32 v41, v34, v41
	v_dual_sub_f32 v31, v31, v44 :: v_dual_add_f32 v34, v50, v34
	v_add_f32_e32 v19, v19, v40
	v_mul_f32_e32 v44, 0x3d64c772, v36
	v_fmamk_f32 v36, v36, 0x3d64c772, v30
	v_fma_f32 v30, 0xbf3bfb3b, v48, -v30
	v_dual_add_f32 v35, v64, v35 :: v_dual_mul_f32 v64, 0x3f08b237, v66
	v_mul_f32_e32 v66, 0xbf5ff5aa, v39
	v_mul_f32_e32 v50, 0x3f08b237, v65
	v_fmamk_f32 v40, v40, 0xbf955555, v19
	v_mul_f32_e32 v45, 0x3d64c772, v37
	v_fma_f32 v44, 0x3f3bfb3b, v48, -v44
	v_fma_f32 v39, 0xbf5ff5aa, v39, -v64
	v_fmamk_f32 v48, v41, 0xbeae86e6, v50
	v_fmamk_f32 v33, v33, 0xbf955555, v18
	v_mul_f32_e32 v31, 0x3f4a47b2, v31
	v_mul_f32_e32 v65, 0xbf5ff5aa, v38
	v_fma_f32 v38, 0xbf5ff5aa, v38, -v50
	v_fma_f32 v50, 0x3eae86e6, v32, -v66
	;; [unrolled: 1-line block ×3, first 2 shown]
	v_fmamk_f32 v37, v37, 0x3d64c772, v31
	v_fma_f32 v31, 0xbf3bfb3b, v49, -v31
	v_fmamk_f32 v49, v32, 0xbeae86e6, v64
	v_add_f32_e32 v64, v36, v33
	v_add_f32_e32 v36, v44, v33
	v_fma_f32 v41, 0x3eae86e6, v41, -v65
	v_add_f32_e32 v44, v30, v33
	v_fmac_f32_e32 v50, 0xbee1c552, v35
	v_dual_fmac_f32 v48, 0xbee1c552, v34 :: v_dual_fmac_f32 v39, 0xbee1c552, v35
	s_delay_alu instid0(VALU_DEP_4) | instskip(SKIP_1) | instid1(VALU_DEP_4)
	v_fmac_f32_e32 v41, 0xbee1c552, v34
	v_fmac_f32_e32 v38, 0xbee1c552, v34
	v_add_f32_e32 v32, v50, v44
	v_add_f32_e32 v65, v37, v40
	;; [unrolled: 1-line block ×4, first 2 shown]
	v_sub_f32_e32 v34, v36, v39
	v_dual_add_f32 v36, v39, v36 :: v_dual_fmac_f32 v49, 0xbee1c552, v35
	v_sub_f32_e32 v31, v65, v48
	s_delay_alu instid0(VALU_DEP_4)
	v_sub_f32_e32 v33, v40, v41
	v_add_f32_e32 v35, v38, v37
	v_sub_f32_e32 v37, v37, v38
	v_sub_f32_e32 v38, v44, v50
	v_add_f32_e32 v30, v49, v64
	v_dual_add_f32 v39, v41, v40 :: v_dual_sub_f32 v50, v67, v77
	v_sub_f32_e32 v40, v64, v49
	v_dual_add_f32 v41, v48, v65 :: v_dual_add_f32 v44, v47, v75
	v_dual_add_f32 v45, v42, v68 :: v_dual_add_f32 v48, v43, v74
	;; [unrolled: 1-line block ×3, first 2 shown]
	v_dual_sub_f32 v47, v47, v75 :: v_dual_sub_f32 v42, v42, v68
	s_delay_alu instid0(VALU_DEP_3) | instskip(SKIP_3) | instid1(VALU_DEP_2)
	v_dual_add_f32 v66, v48, v44 :: v_dual_sub_f32 v43, v43, v74
	v_sub_f32_e32 v68, v48, v44
	v_dual_sub_f32 v46, v51, v46 :: v_dual_add_f32 v65, v73, v76
	v_dual_add_f32 v67, v49, v45 :: v_dual_sub_f32 v44, v44, v64
	v_dual_sub_f32 v51, v76, v73 :: v_dual_sub_f32 v72, v46, v43
	v_dual_sub_f32 v69, v49, v45 :: v_dual_sub_f32 v48, v64, v48
	s_delay_alu instid0(VALU_DEP_4) | instskip(SKIP_2) | instid1(VALU_DEP_4)
	v_dual_add_f32 v70, v46, v43 :: v_dual_sub_f32 v45, v45, v65
	v_dual_sub_f32 v46, v47, v46 :: v_dual_sub_f32 v49, v65, v49
	v_dual_add_f32 v64, v64, v66 :: v_dual_add_f32 v65, v65, v67
	v_dual_mul_f32 v66, 0x3d64c772, v48 :: v_dual_add_f32 v71, v51, v50
	v_dual_sub_f32 v73, v51, v50 :: v_dual_mul_f32 v44, 0x3f4a47b2, v44
	v_dual_sub_f32 v43, v43, v47 :: v_dual_sub_f32 v50, v50, v42
	s_delay_alu instid0(VALU_DEP_4) | instskip(NEXT) | instid1(VALU_DEP_4)
	v_dual_add_f32 v12, v12, v64 :: v_dual_add_f32 v13, v13, v65
	v_dual_sub_f32 v51, v42, v51 :: v_dual_add_f32 v42, v71, v42
	v_dual_add_f32 v47, v70, v47 :: v_dual_mul_f32 v70, 0x3f08b237, v72
	v_dual_mul_f32 v67, 0x3d64c772, v49 :: v_dual_fmamk_f32 v48, v48, 0x3d64c772, v44
	v_mul_f32_e32 v72, 0xbf5ff5aa, v43
	v_dual_fmamk_f32 v64, v64, 0xbf955555, v12 :: v_dual_fmamk_f32 v65, v65, 0xbf955555, v13
	v_mul_f32_e32 v45, 0x3f4a47b2, v45
	v_fma_f32 v66, 0x3f3bfb3b, v68, -v66
	v_mul_f32_e32 v71, 0x3f08b237, v73
	v_fma_f32 v44, 0xbf3bfb3b, v68, -v44
	v_mul_f32_e32 v73, 0xbf5ff5aa, v50
	v_fmamk_f32 v49, v49, 0x3d64c772, v45
	v_fma_f32 v67, 0x3f3bfb3b, v69, -v67
	v_fma_f32 v45, 0xbf3bfb3b, v69, -v45
	v_dual_fmamk_f32 v68, v46, 0xbeae86e6, v70 :: v_dual_fmamk_f32 v69, v51, 0xbeae86e6, v71
	v_fma_f32 v50, 0xbf5ff5aa, v50, -v71
	v_fma_f32 v71, 0x3eae86e6, v46, -v72
	v_add_f32_e32 v72, v48, v64
	v_add_f32_e32 v48, v66, v64
	;; [unrolled: 1-line block ×3, first 2 shown]
	v_fma_f32 v51, 0x3eae86e6, v51, -v73
	v_fma_f32 v70, 0xbf5ff5aa, v43, -v70
	v_fmac_f32_e32 v68, 0xbee1c552, v47
	v_fmac_f32_e32 v50, 0xbee1c552, v42
	v_fmac_f32_e32 v69, 0xbee1c552, v42
	s_delay_alu instid0(VALU_DEP_4) | instskip(NEXT) | instid1(VALU_DEP_3)
	v_dual_fmac_f32 v51, 0xbee1c552, v42 :: v_dual_fmac_f32 v70, 0xbee1c552, v47
	v_dual_fmac_f32 v71, 0xbee1c552, v47 :: v_dual_sub_f32 v46, v48, v50
	v_add_f32_e32 v48, v50, v48
	s_delay_alu instid0(VALU_DEP_3) | instskip(SKIP_3) | instid1(VALU_DEP_4)
	v_dual_add_f32 v44, v51, v64 :: v_dual_add_f32 v73, v49, v65
	v_add_f32_e32 v49, v67, v65
	v_add_f32_e32 v65, v45, v65
	;; [unrolled: 1-line block ×3, first 2 shown]
	v_dual_sub_f32 v50, v64, v51 :: v_dual_sub_f32 v43, v73, v68
	s_delay_alu instid0(VALU_DEP_4) | instskip(NEXT) | instid1(VALU_DEP_4)
	v_add_f32_e32 v47, v70, v49
	v_dual_sub_f32 v45, v65, v71 :: v_dual_sub_f32 v64, v72, v69
	v_sub_f32_e32 v49, v49, v70
	v_add_f32_e32 v51, v71, v65
	v_add_f32_e32 v65, v68, v73
	ds_store_2addr_b64 v228, v[14:15], v[16:17] offset1:45
	ds_store_2addr_b64 v228, v[20:21], v[22:23] offset0:90 offset1:135
	ds_store_2addr_b64 v228, v[24:25], v[26:27] offset0:180 offset1:225
	ds_store_b64 v228, v[28:29] offset:2160
	ds_store_2addr_b64 v229, v[18:19], v[30:31] offset1:45
	ds_store_2addr_b64 v229, v[32:33], v[34:35] offset0:90 offset1:135
	ds_store_2addr_b64 v229, v[36:37], v[38:39] offset0:180 offset1:225
	ds_store_b64 v229, v[40:41] offset:2160
	;; [unrolled: 4-line block ×3, first 2 shown]
	s_and_saveexec_b32 s1, s0
	s_cbranch_execz .LBB0_29
; %bb.28:
	v_dual_mul_f32 v12, v53, v11 :: v_dual_mul_f32 v13, v59, v1
	v_dual_mul_f32 v16, v61, v3 :: v_dual_mul_f32 v17, v63, v221
	;; [unrolled: 1-line block ×3, first 2 shown]
	s_delay_alu instid0(VALU_DEP_3) | instskip(NEXT) | instid1(VALU_DEP_3)
	v_fmac_f32_e32 v12, v52, v10
	v_dual_fmac_f32 v16, v60, v2 :: v_dual_fmac_f32 v17, v62, v220
	v_mul_f32_e32 v20, v63, v220
	s_delay_alu instid0(VALU_DEP_4) | instskip(SKIP_1) | instid1(VALU_DEP_4)
	v_dual_fmac_f32 v15, v54, v4 :: v_dual_mul_f32 v2, v61, v2
	v_dual_fmac_f32 v13, v58, v0 :: v_dual_fmac_f32 v14, v56, v6
	v_sub_f32_e32 v21, v12, v17
	s_delay_alu instid0(VALU_DEP_4) | instskip(SKIP_4) | instid1(VALU_DEP_4)
	v_fma_f32 v20, v62, v221, -v20
	v_mul_f32_e32 v4, v55, v4
	v_mul_f32_e32 v6, v57, v6
	v_fma_f32 v2, v60, v3, -v2
	v_dual_sub_f32 v18, v13, v14 :: v_dual_sub_f32 v19, v15, v16
	v_fma_f32 v3, v54, v5, -v4
	v_dual_mul_f32 v10, v53, v10 :: v_dual_add_f32 v15, v16, v15
	v_fma_f32 v6, v56, v7, -v6
	s_delay_alu instid0(VALU_DEP_4) | instskip(NEXT) | instid1(VALU_DEP_4)
	v_dual_sub_f32 v22, v18, v19 :: v_dual_sub_f32 v23, v21, v18
	v_add_f32_e32 v7, v2, v3
	s_delay_alu instid0(VALU_DEP_4) | instskip(SKIP_1) | instid1(VALU_DEP_2)
	v_fma_f32 v10, v52, v11, -v10
	v_dual_sub_f32 v2, v3, v2 :: v_dual_add_f32 v13, v14, v13
	v_add_f32_e32 v5, v20, v10
	s_delay_alu instid0(VALU_DEP_1) | instskip(SKIP_1) | instid1(VALU_DEP_1)
	v_add_f32_e32 v11, v7, v5
	v_mul_f32_e32 v0, v59, v0
	v_fma_f32 v0, v58, v1, -v0
	s_delay_alu instid0(VALU_DEP_1) | instskip(NEXT) | instid1(VALU_DEP_1)
	v_dual_mul_f32 v22, 0x3f08b237, v22 :: v_dual_add_f32 v1, v6, v0
	v_dual_sub_f32 v6, v0, v6 :: v_dual_add_f32 v11, v1, v11
	v_add_f32_e32 v12, v17, v12
	v_sub_f32_e32 v24, v5, v1
	v_add_f32_e32 v4, v18, v19
	s_delay_alu instid0(VALU_DEP_4) | instskip(SKIP_1) | instid1(VALU_DEP_3)
	v_dual_sub_f32 v16, v1, v7 :: v_dual_sub_f32 v3, v6, v2
	v_add_f32_e32 v1, v9, v11
	v_dual_mul_f32 v17, 0x3f4a47b2, v24 :: v_dual_add_f32 v4, v4, v21
	v_fmamk_f32 v18, v23, 0xbeae86e6, v22
	s_delay_alu instid0(VALU_DEP_4) | instskip(NEXT) | instid1(VALU_DEP_4)
	v_mul_f32_e32 v14, 0x3d64c772, v16
	v_fmamk_f32 v11, v11, 0xbf955555, v1
	s_delay_alu instid0(VALU_DEP_4) | instskip(NEXT) | instid1(VALU_DEP_4)
	v_dual_add_f32 v9, v15, v12 :: v_dual_fmamk_f32 v16, v16, 0x3d64c772, v17
	v_dual_sub_f32 v19, v19, v21 :: v_dual_fmac_f32 v18, 0xbee1c552, v4
	v_sub_f32_e32 v5, v7, v5
	s_delay_alu instid0(VALU_DEP_3) | instskip(SKIP_1) | instid1(VALU_DEP_2)
	v_dual_add_f32 v9, v13, v9 :: v_dual_add_f32 v16, v16, v11
	v_sub_f32_e32 v7, v15, v12
	v_dual_mul_f32 v25, 0x3f08b237, v3 :: v_dual_add_f32 v0, v8, v9
	v_dual_sub_f32 v24, v12, v13 :: v_dual_sub_f32 v13, v13, v15
	v_sub_f32_e32 v8, v10, v20
	v_add_f32_e32 v3, v18, v16
	s_delay_alu instid0(VALU_DEP_4) | instskip(NEXT) | instid1(VALU_DEP_4)
	v_fmamk_f32 v9, v9, 0xbf955555, v0
	v_mul_f32_e32 v24, 0x3f4a47b2, v24
	s_delay_alu instid0(VALU_DEP_1) | instskip(SKIP_2) | instid1(VALU_DEP_1)
	v_dual_fmamk_f32 v10, v13, 0x3d64c772, v24 :: v_dual_mul_f32 v13, 0x3d64c772, v13
	v_sub_f32_e32 v20, v8, v6
	v_add_f32_e32 v6, v6, v2
	v_add_f32_e32 v6, v6, v8
	v_sub_f32_e32 v2, v2, v8
	v_fma_f32 v8, 0xbf3bfb3b, v5, -v17
	v_fma_f32 v5, 0x3f3bfb3b, v5, -v14
	s_delay_alu instid0(VALU_DEP_3) | instskip(NEXT) | instid1(VALU_DEP_3)
	v_mul_f32_e32 v15, 0xbf5ff5aa, v2
	v_add_f32_e32 v17, v8, v11
	v_dual_add_f32 v21, v10, v9 :: v_dual_mul_f32 v10, 0xbf5ff5aa, v19
	v_fma_f32 v8, 0xbf5ff5aa, v19, -v22
	v_add_f32_e32 v11, v5, v11
	v_fma_f32 v15, 0x3eae86e6, v20, -v15
	v_fma_f32 v12, 0xbf3bfb3b, v7, -v24
	;; [unrolled: 1-line block ×4, first 2 shown]
	s_delay_alu instid0(VALU_DEP_4) | instskip(SKIP_1) | instid1(VALU_DEP_4)
	v_dual_fmac_f32 v8, 0xbee1c552, v4 :: v_dual_fmac_f32 v15, 0xbee1c552, v6
	v_fma_f32 v2, 0xbf5ff5aa, v2, -v25
	v_dual_fmac_f32 v10, 0xbee1c552, v4 :: v_dual_sub_f32 v13, v16, v18
	v_fmamk_f32 v26, v20, 0xbeae86e6, v25
	v_add_f32_e32 v12, v12, v9
	s_delay_alu instid0(VALU_DEP_3) | instskip(NEXT) | instid1(VALU_DEP_3)
	v_dual_fmac_f32 v2, 0xbee1c552, v6 :: v_dual_add_f32 v5, v10, v17
	v_fmac_f32_e32 v26, 0xbee1c552, v6
	v_add_f32_e32 v6, v7, v9
	v_sub_f32_e32 v7, v11, v8
	v_add_f32_e32 v9, v8, v11
	scratch_load_b32 v11, off, off offset:244 th:TH_LOAD_LU ; 4-byte Folded Reload
	s_wait_loadcnt 0x0
	v_dual_sub_f32 v11, v17, v10 :: v_dual_lshlrev_b32 v14, 3, v11
	v_sub_f32_e32 v4, v12, v15
	v_add_f32_e32 v10, v15, v12
	s_delay_alu instid0(VALU_DEP_3)
	v_dual_add_f32 v12, v26, v21 :: v_dual_add_nc_u32 v15, 0x2400, v14
	v_sub_f32_e32 v8, v6, v2
	v_add_nc_u32_e32 v16, 0x2800, v14
	v_add_f32_e32 v6, v2, v6
	v_sub_f32_e32 v2, v21, v26
	ds_store_2addr_b64 v15, v[0:1], v[12:13] offset0:108 offset1:153
	ds_store_2addr_b64 v16, v[10:11], v[8:9] offset0:70 offset1:115
	;; [unrolled: 1-line block ×3, first 2 shown]
	ds_store_b64 v14, v[2:3] offset:12240
.LBB0_29:
	s_wait_alu 0xfffe
	s_or_b32 exec_lo, exec_lo, s1
	v_add_nc_u32_e32 v21, 0x400, v255
	global_wb scope:SCOPE_SE
	s_wait_dscnt 0x0
	s_barrier_signal -1
	s_barrier_wait -1
	global_inv scope:SCOPE_SE
	ds_load_2addr_b64 v[0:3], v21 offset0:124 offset1:187
	v_add_nc_u32_e32 v18, 0x1800, v255
	v_add_nc_u32_e32 v22, 0x1000, v255
	;; [unrolled: 1-line block ×4, first 2 shown]
	s_mov_b32 s2, 0xae67b348
	s_mov_b32 s3, 0x3f44ce19
	s_wait_dscnt 0x0
	v_mul_f32_e32 v59, v137, v2
	ds_load_2addr_b64 v[4:7], v255 offset1:63
	ds_load_2addr_b64 v[12:15], v22 offset0:118 offset1:181
	ds_load_2addr_b64 v[30:33], v18 offset0:114 offset1:177
	v_mul_f32_e32 v58, v137, v3
	v_add_nc_u32_e32 v25, 0x1c00, v255
	ds_load_2addr_b64 v[8:11], v255 offset0:126 offset1:189
	v_add_nc_u32_e32 v19, 0x2800, v255
	v_dual_fmac_f32 v58, v136, v2 :: v_dual_add_nc_u32 v23, 0x2000, v255
	v_fma_f32 v59, v136, v3, -v59
	s_wait_dscnt 0x2
	v_mul_f32_e32 v2, v139, v12
	s_wait_dscnt 0x1
	v_mul_f32_e32 v62, v129, v32
	v_dual_mul_f32 v61, v129, v33 :: v_dual_add_nc_u32 v16, 0x2400, v255
	v_mul_f32_e32 v60, v139, v13
	v_fma_f32 v63, v138, v13, -v2
	s_delay_alu instid0(VALU_DEP_4) | instskip(NEXT) | instid1(VALU_DEP_4)
	v_fma_f32 v33, v128, v33, -v62
	v_fmac_f32_e32 v61, v128, v32
	ds_load_2addr_b64 v[26:29], v16 offset0:108 offset1:171
	ds_load_b64 v[16:17], v255 offset:12096
	ds_load_2addr_b64 v[34:37], v20 offset0:122 offset1:185
	ds_load_2addr_b64 v[38:41], v25 offset0:112 offset1:175
	;; [unrolled: 1-line block ×4, first 2 shown]
	v_add_nc_u32_e32 v24, 0xc00, v255
	s_wait_dscnt 0x5
	v_dual_fmac_f32 v60, v138, v12 :: v_dual_mul_f32 v13, v131, v27
	v_mul_f32_e32 v2, v131, v26
	s_wait_dscnt 0x3
	v_mul_f32_e32 v3, v125, v34
	s_wait_dscnt 0x2
	v_mul_f32_e32 v67, v133, v39
	v_dual_mul_f32 v62, v125, v35 :: v_dual_fmac_f32 v13, v130, v26
	v_fma_f32 v65, v130, v27, -v2
	v_fma_f32 v66, v124, v35, -v3
	v_mul_f32_e32 v3, v133, v38
	ds_load_2addr_b64 v[50:53], v24 offset0:120 offset1:183
	ds_load_2addr_b64 v[54:57], v23 offset0:110 offset1:173
	s_wait_dscnt 0x3
	v_mul_f32_e32 v73, v143, v43
	v_mul_f32_e32 v64, v127, v15
	;; [unrolled: 1-line block ×3, first 2 shown]
	v_fma_f32 v70, v132, v39, -v3
	v_mul_f32_e32 v3, v143, v42
	v_fmac_f32_e32 v62, v124, v34
	v_fmac_f32_e32 v73, v142, v42
	s_wait_dscnt 0x2
	v_dual_fmac_f32 v64, v126, v14 :: v_dual_mul_f32 v77, v147, v47
	v_mul_f32_e32 v68, v135, v29
	v_fma_f32 v76, v142, v43, -v3
	v_mul_f32_e32 v3, v147, v46
	v_mul_f32_e32 v2, v127, v14
	v_fmac_f32_e32 v77, v146, v46
	v_fmac_f32_e32 v68, v134, v28
	v_mul_f32_e32 v28, v159, v31
	v_fma_f32 v80, v146, v47, -v3
	v_mul_f32_e32 v88, v151, v17
	s_wait_dscnt 0x0
	v_dual_mul_f32 v82, v163, v45 :: v_dual_mul_f32 v83, v153, v55
	v_mul_f32_e32 v72, v141, v37
	v_mul_f32_e32 v3, v153, v54
	v_fma_f32 v71, v134, v29, -v12
	v_mul_f32_e32 v12, v161, v50
	v_fmac_f32_e32 v83, v152, v54
	v_dual_fmac_f32 v72, v140, v36 :: v_dual_mul_f32 v29, v157, v53
	v_mul_f32_e32 v74, v145, v41
	s_delay_alu instid0(VALU_DEP_4)
	v_fma_f32 v81, v160, v51, -v12
	v_mul_f32_e32 v12, v159, v30
	v_fma_f32 v69, v126, v15, -v2
	v_dual_mul_f32 v2, v141, v36 :: v_dual_sub_f32 v15, v59, v65
	v_fmac_f32_e32 v29, v156, v52
	v_fmac_f32_e32 v74, v144, v40
	v_fma_f32 v27, v158, v31, -v12
	v_mul_f32_e32 v31, v149, v57
	v_mul_f32_e32 v78, v161, v51
	v_fma_f32 v75, v140, v37, -v2
	v_dual_mul_f32 v2, v145, v40 :: v_dual_add_f32 v35, v58, v13
	v_fma_f32 v86, v152, v55, -v3
	v_mul_f32_e32 v3, v157, v52
	v_fmac_f32_e32 v31, v148, v56
	v_fmac_f32_e32 v78, v160, v50
	;; [unrolled: 1-line block ×3, first 2 shown]
	v_sub_f32_e32 v14, v58, v60
	v_sub_f32_e32 v32, v13, v61
	v_mul_f32_e32 v16, v151, v16
	v_fma_f32 v79, v144, v41, -v2
	v_mul_f32_e32 v2, v163, v44
	v_fma_f32 v26, v156, v53, -v3
	v_mul_f32_e32 v3, v149, v56
	v_fmac_f32_e32 v82, v162, v44
	v_add_f32_e32 v36, v14, v32
	v_fma_f32 v32, v150, v17, -v16
	v_dual_sub_f32 v17, v61, v13 :: v_dual_add_f32 v12, v4, v58
	v_mul_f32_e32 v84, v155, v49
	v_fma_f32 v85, v162, v45, -v2
	v_mul_f32_e32 v2, v155, v48
	v_dual_fmac_f32 v28, v158, v30 :: v_dual_add_f32 v37, v63, v33
	v_fma_f32 v30, v148, v57, -v3
	v_add_f32_e32 v3, v12, v60
	s_delay_alu instid0(VALU_DEP_4)
	v_fma_f32 v87, v154, v49, -v2
	v_add_f32_e32 v2, v60, v61
	v_fma_f32 v14, -0.5, v35, v4
	v_fmac_f32_e32 v67, v132, v38
	v_dual_add_f32 v3, v3, v61 :: v_dual_fmac_f32 v84, v154, v48
	v_add_f32_e32 v35, v5, v59
	v_fma_f32 v2, -0.5, v2, v4
	v_sub_f32_e32 v40, v69, v70
	s_delay_alu instid0(VALU_DEP_4) | instskip(NEXT) | instid1(VALU_DEP_3)
	v_dual_add_f32 v4, v3, v13 :: v_dual_add_f32 v39, v6, v62
	v_dual_sub_f32 v3, v60, v58 :: v_dual_fmamk_f32 v12, v15, 0xbf737871, v2
	v_sub_f32_e32 v41, v68, v67
	v_fmac_f32_e32 v2, 0x3f737871, v15
	s_delay_alu instid0(VALU_DEP_3) | instskip(SKIP_4) | instid1(VALU_DEP_3)
	v_dual_add_f32 v42, v62, v68 :: v_dual_add_f32 v17, v3, v17
	v_fma_f32 v3, -0.5, v37, v5
	v_sub_f32_e32 v37, v58, v13
	v_dual_add_f32 v43, v69, v70 :: v_dual_sub_f32 v48, v76, v79
	v_add_f32_e32 v46, v73, v74
	v_dual_sub_f32 v52, v75, v76 :: v_dual_fmamk_f32 v13, v37, 0x3f737871, v3
	v_fmac_f32_e32 v3, 0xbf737871, v37
	v_sub_f32_e32 v34, v63, v33
	v_sub_f32_e32 v56, v85, v86
	v_add_f32_e32 v54, v82, v83
	v_dual_add_f32 v58, v78, v84 :: v_dual_sub_f32 v45, v71, v70
	s_delay_alu instid0(VALU_DEP_4)
	v_fmamk_f32 v16, v34, 0x3f737871, v14
	v_fmac_f32_e32 v14, 0xbf737871, v34
	v_fmac_f32_e32 v12, 0xbf167918, v34
	;; [unrolled: 1-line block ×3, first 2 shown]
	v_add_f32_e32 v34, v35, v63
	v_fmac_f32_e32 v16, 0xbf167918, v15
	v_dual_fmac_f32 v14, 0x3f167918, v15 :: v_dual_add_f32 v15, v59, v65
	v_sub_f32_e32 v35, v60, v61
	s_delay_alu instid0(VALU_DEP_4) | instskip(NEXT) | instid1(VALU_DEP_4)
	v_add_f32_e32 v34, v34, v33
	v_fmac_f32_e32 v16, 0x3e9e377a, v17
	s_delay_alu instid0(VALU_DEP_4)
	v_fmac_f32_e32 v14, 0x3e9e377a, v17
	v_fma_f32 v15, -0.5, v15, v5
	v_fmac_f32_e32 v3, 0xbf167918, v35
	v_add_f32_e32 v5, v34, v65
	v_fmac_f32_e32 v13, 0x3f167918, v35
	v_add_f32_e32 v47, v8, v72
	v_fmamk_f32 v17, v35, 0xbf737871, v15
	v_dual_fmac_f32 v15, 0x3f737871, v35 :: v_dual_sub_f32 v60, v81, v85
	v_sub_f32_e32 v49, v77, v74
	v_add_f32_e32 v51, v76, v79
	s_delay_alu instid0(VALU_DEP_4)
	v_fmac_f32_e32 v17, 0x3f167918, v37
	v_fmac_f32_e32 v12, 0x3e9e377a, v36
	;; [unrolled: 1-line block ×3, first 2 shown]
	v_dual_sub_f32 v36, v59, v63 :: v_dual_fmac_f32 v15, 0xbf167918, v37
	v_sub_f32_e32 v38, v65, v33
	v_sub_f32_e32 v33, v33, v65
	;; [unrolled: 1-line block ×3, first 2 shown]
	v_add_f32_e32 v55, v10, v78
	v_sub_f32_e32 v57, v84, v83
	v_add_f32_e32 v34, v36, v38
	v_dual_sub_f32 v36, v63, v59 :: v_dual_add_f32 v59, v85, v86
	v_dual_add_f32 v52, v52, v53 :: v_dual_sub_f32 v53, v79, v80
	s_delay_alu instid0(VALU_DEP_3) | instskip(SKIP_1) | instid1(VALU_DEP_4)
	v_fmac_f32_e32 v13, 0x3e9e377a, v34
	v_dual_fmac_f32 v3, 0x3e9e377a, v34 :: v_dual_add_f32 v34, v39, v64
	v_dual_add_f32 v36, v36, v33 :: v_dual_sub_f32 v39, v62, v64
	v_sub_f32_e32 v61, v87, v86
	s_delay_alu instid0(VALU_DEP_3) | instskip(NEXT) | instid1(VALU_DEP_3)
	v_dual_sub_f32 v63, v29, v28 :: v_dual_add_f32 v34, v34, v67
	v_fmac_f32_e32 v17, 0x3e9e377a, v36
	v_fmac_f32_e32 v15, 0x3e9e377a, v36
	v_sub_f32_e32 v36, v67, v68
	v_add_f32_e32 v41, v39, v41
	v_dual_add_f32 v37, v34, v68 :: v_dual_sub_f32 v34, v64, v62
	v_dual_add_f32 v60, v60, v61 :: v_dual_sub_f32 v61, v86, v87
	v_add_f32_e32 v65, v29, v88
	s_delay_alu instid0(VALU_DEP_3) | instskip(SKIP_4) | instid1(VALU_DEP_4)
	v_add_f32_e32 v44, v34, v36
	v_add_f32_e32 v38, v64, v67
	v_fma_f32 v34, -0.5, v43, v7
	v_sub_f32_e32 v43, v64, v67
	v_sub_f32_e32 v64, v88, v31
	v_fma_f32 v33, -0.5, v38, v6
	v_sub_f32_e32 v38, v66, v71
	v_fma_f32 v6, -0.5, v42, v6
	v_add_f32_e32 v42, v7, v66
	v_dual_add_f32 v63, v63, v64 :: v_dual_sub_f32 v64, v28, v29
	s_delay_alu instid0(VALU_DEP_4) | instskip(NEXT) | instid1(VALU_DEP_3)
	v_fmamk_f32 v35, v38, 0xbf737871, v33
	v_dual_fmac_f32 v33, 0x3f737871, v38 :: v_dual_add_f32 v36, v42, v69
	v_sub_f32_e32 v42, v62, v68
	s_delay_alu instid0(VALU_DEP_3) | instskip(NEXT) | instid1(VALU_DEP_3)
	v_dual_add_f32 v62, v28, v31 :: v_dual_fmac_f32 v35, 0xbf167918, v40
	v_fmac_f32_e32 v33, 0x3f167918, v40
	s_delay_alu instid0(VALU_DEP_2) | instskip(NEXT) | instid1(VALU_DEP_2)
	v_fmac_f32_e32 v35, 0x3e9e377a, v41
	v_fmac_f32_e32 v33, 0x3e9e377a, v41
	v_sub_f32_e32 v41, v66, v69
	v_fmamk_f32 v39, v40, 0x3f737871, v6
	v_fmac_f32_e32 v6, 0xbf737871, v40
	s_delay_alu instid0(VALU_DEP_2) | instskip(NEXT) | instid1(VALU_DEP_1)
	v_dual_add_f32 v40, v66, v71 :: v_dual_fmac_f32 v39, 0xbf167918, v38
	v_dual_fmac_f32 v6, 0x3f167918, v38 :: v_dual_fmac_f32 v7, -0.5, v40
	v_add_f32_e32 v38, v36, v70
	s_delay_alu instid0(VALU_DEP_2)
	v_fmamk_f32 v40, v43, 0xbf737871, v7
	v_fmac_f32_e32 v7, 0x3f737871, v43
	v_fmac_f32_e32 v39, 0x3e9e377a, v44
	v_fmac_f32_e32 v6, 0x3e9e377a, v44
	v_add_f32_e32 v44, v41, v45
	v_sub_f32_e32 v41, v69, v66
	v_sub_f32_e32 v45, v70, v71
	s_delay_alu instid0(VALU_DEP_1) | instskip(SKIP_4) | instid1(VALU_DEP_2)
	v_add_f32_e32 v45, v41, v45
	v_fma_f32 v41, -0.5, v46, v8
	v_sub_f32_e32 v46, v75, v80
	v_fmamk_f32 v36, v42, 0x3f737871, v34
	v_fmac_f32_e32 v34, 0xbf737871, v42
	v_fmac_f32_e32 v36, 0x3f167918, v43
	s_delay_alu instid0(VALU_DEP_2) | instskip(NEXT) | instid1(VALU_DEP_2)
	v_fmac_f32_e32 v34, 0xbf167918, v43
	v_fmac_f32_e32 v36, 0x3e9e377a, v44
	s_delay_alu instid0(VALU_DEP_2) | instskip(SKIP_3) | instid1(VALU_DEP_3)
	v_fmac_f32_e32 v34, 0x3e9e377a, v44
	v_add_f32_e32 v44, v47, v73
	v_dual_sub_f32 v47, v72, v73 :: v_dual_fmac_f32 v40, 0x3f167918, v42
	v_fmac_f32_e32 v7, 0xbf167918, v42
	v_add_f32_e32 v42, v44, v74
	s_delay_alu instid0(VALU_DEP_3) | instskip(NEXT) | instid1(VALU_DEP_4)
	v_add_f32_e32 v44, v47, v49
	v_fmac_f32_e32 v40, 0x3e9e377a, v45
	s_delay_alu instid0(VALU_DEP_4) | instskip(SKIP_2) | instid1(VALU_DEP_1)
	v_fmac_f32_e32 v7, 0x3e9e377a, v45
	v_sub_f32_e32 v49, v74, v77
	v_dual_add_f32 v45, v42, v77 :: v_dual_sub_f32 v42, v73, v72
	v_add_f32_e32 v49, v42, v49
	v_fma_f32 v42, -0.5, v51, v9
	v_dual_sub_f32 v51, v73, v74 :: v_dual_add_f32 v50, v72, v77
	v_fmamk_f32 v43, v46, 0xbf737871, v41
	v_fmac_f32_e32 v41, 0x3f737871, v46
	s_delay_alu instid0(VALU_DEP_3) | instskip(NEXT) | instid1(VALU_DEP_3)
	v_fma_f32 v8, -0.5, v50, v8
	v_dual_add_f32 v50, v9, v75 :: v_dual_fmac_f32 v43, 0xbf167918, v48
	s_delay_alu instid0(VALU_DEP_3) | instskip(NEXT) | instid1(VALU_DEP_3)
	v_dual_fmac_f32 v41, 0x3f167918, v48 :: v_dual_add_f32 v38, v38, v71
	v_fmamk_f32 v47, v48, 0x3f737871, v8
	v_fmac_f32_e32 v8, 0xbf737871, v48
	s_delay_alu instid0(VALU_DEP_4) | instskip(SKIP_4) | instid1(VALU_DEP_2)
	v_add_f32_e32 v48, v50, v76
	v_fmac_f32_e32 v43, 0x3e9e377a, v44
	v_fmac_f32_e32 v41, 0x3e9e377a, v44
	;; [unrolled: 1-line block ×5, first 2 shown]
	s_delay_alu instid0(VALU_DEP_2) | instskip(NEXT) | instid1(VALU_DEP_1)
	v_dual_fmac_f32 v8, 0x3e9e377a, v49 :: v_dual_sub_f32 v49, v76, v75
	v_dual_add_f32 v53, v49, v53 :: v_dual_add_f32 v46, v48, v79
	v_fma_f32 v49, -0.5, v54, v10
	v_sub_f32_e32 v54, v81, v87
	v_sub_f32_e32 v50, v72, v77
	v_fma_f32 v10, -0.5, v58, v10
	v_add_f32_e32 v48, v75, v80
	v_add_f32_e32 v58, v11, v81
	s_delay_alu instid0(VALU_DEP_4) | instskip(SKIP_1) | instid1(VALU_DEP_4)
	v_fmamk_f32 v44, v50, 0x3f737871, v42
	v_fmac_f32_e32 v42, 0xbf737871, v50
	v_fma_f32 v9, -0.5, v48, v9
	s_delay_alu instid0(VALU_DEP_3) | instskip(NEXT) | instid1(VALU_DEP_3)
	v_fmac_f32_e32 v44, 0x3f167918, v51
	v_fmac_f32_e32 v42, 0xbf167918, v51
	s_delay_alu instid0(VALU_DEP_3)
	v_fmamk_f32 v48, v51, 0xbf737871, v9
	v_fmac_f32_e32 v9, 0x3f737871, v51
	v_fmamk_f32 v51, v54, 0xbf737871, v49
	v_fmac_f32_e32 v49, 0x3f737871, v54
	v_fmac_f32_e32 v42, 0x3e9e377a, v52
	;; [unrolled: 1-line block ×7, first 2 shown]
	v_add_f32_e32 v52, v55, v82
	v_dual_sub_f32 v55, v78, v82 :: v_dual_fmac_f32 v48, 0x3e9e377a, v53
	s_delay_alu instid0(VALU_DEP_2) | instskip(NEXT) | instid1(VALU_DEP_2)
	v_dual_fmac_f32 v9, 0x3e9e377a, v53 :: v_dual_add_f32 v50, v52, v83
	v_dual_add_f32 v52, v55, v57 :: v_dual_fmamk_f32 v55, v56, 0x3f737871, v10
	v_sub_f32_e32 v57, v83, v84
	v_fmac_f32_e32 v10, 0xbf737871, v56
	s_delay_alu instid0(VALU_DEP_4) | instskip(SKIP_3) | instid1(VALU_DEP_3)
	v_add_f32_e32 v53, v50, v84
	v_sub_f32_e32 v50, v82, v78
	v_add_f32_e32 v56, v58, v85
	v_dual_add_f32 v46, v46, v80 :: v_dual_fmac_f32 v55, 0xbf167918, v54
	v_dual_fmac_f32 v10, 0x3f167918, v54 :: v_dual_add_f32 v57, v50, v57
	s_delay_alu instid0(VALU_DEP_3) | instskip(SKIP_4) | instid1(VALU_DEP_4)
	v_add_f32_e32 v54, v56, v86
	v_add_f32_e32 v56, v81, v87
	v_fma_f32 v50, -0.5, v59, v11
	v_sub_f32_e32 v59, v82, v83
	v_fmac_f32_e32 v55, 0x3e9e377a, v57
	v_dual_fmac_f32 v10, 0x3e9e377a, v57 :: v_dual_fmac_f32 v11, -0.5, v56
	v_sub_f32_e32 v57, v85, v81
	v_fmac_f32_e32 v51, 0x3e9e377a, v52
	v_fmac_f32_e32 v49, 0x3e9e377a, v52
	s_delay_alu instid0(VALU_DEP_3) | instskip(SKIP_2) | instid1(VALU_DEP_2)
	v_dual_fmamk_f32 v56, v59, 0xbf737871, v11 :: v_dual_add_f32 v61, v57, v61
	v_dual_sub_f32 v58, v78, v84 :: v_dual_fmac_f32 v11, 0x3f737871, v59
	v_fma_f32 v57, -0.5, v62, v0
	v_fmac_f32_e32 v11, 0xbf167918, v58
	s_delay_alu instid0(VALU_DEP_1) | instskip(SKIP_3) | instid1(VALU_DEP_3)
	v_fmac_f32_e32 v11, 0x3e9e377a, v61
	v_fmamk_f32 v52, v58, 0x3f737871, v50
	v_fmac_f32_e32 v50, 0xbf737871, v58
	v_fmac_f32_e32 v56, 0x3f167918, v58
	;; [unrolled: 1-line block ×3, first 2 shown]
	s_delay_alu instid0(VALU_DEP_3) | instskip(NEXT) | instid1(VALU_DEP_3)
	v_dual_fmac_f32 v50, 0xbf167918, v59 :: v_dual_add_f32 v59, v0, v29
	v_fmac_f32_e32 v56, 0x3e9e377a, v61
	v_fma_f32 v0, -0.5, v65, v0
	v_sub_f32_e32 v65, v31, v88
	v_sub_f32_e32 v29, v29, v88
	v_add_f32_e32 v58, v59, v28
	v_sub_f32_e32 v62, v26, v32
	v_fmac_f32_e32 v50, 0x3e9e377a, v60
	v_dual_add_f32 v64, v64, v65 :: v_dual_add_f32 v65, v26, v32
	s_delay_alu instid0(VALU_DEP_4) | instskip(SKIP_3) | instid1(VALU_DEP_4)
	v_add_f32_e32 v58, v58, v31
	v_fmac_f32_e32 v52, 0x3e9e377a, v60
	v_fmamk_f32 v59, v62, 0xbf737871, v57
	v_dual_fmac_f32 v57, 0x3f737871, v62 :: v_dual_sub_f32 v28, v28, v31
	v_add_f32_e32 v61, v58, v88
	v_add_f32_e32 v54, v54, v87
	v_sub_f32_e32 v60, v27, v30
	s_delay_alu instid0(VALU_DEP_1) | instskip(SKIP_1) | instid1(VALU_DEP_2)
	v_dual_add_f32 v58, v27, v30 :: v_dual_fmac_f32 v59, 0xbf167918, v60
	v_fmac_f32_e32 v57, 0x3f167918, v60
	v_fma_f32 v58, -0.5, v58, v1
	s_delay_alu instid0(VALU_DEP_3) | instskip(NEXT) | instid1(VALU_DEP_3)
	v_fmac_f32_e32 v59, 0x3e9e377a, v63
	v_fmac_f32_e32 v57, 0x3e9e377a, v63
	v_fmamk_f32 v63, v60, 0x3f737871, v0
	v_fmac_f32_e32 v0, 0xbf737871, v60
	v_dual_add_f32 v60, v1, v26 :: v_dual_fmac_f32 v1, -0.5, v65
	v_sub_f32_e32 v65, v32, v30
	s_delay_alu instid0(VALU_DEP_4) | instskip(NEXT) | instid1(VALU_DEP_4)
	v_fmac_f32_e32 v63, 0xbf167918, v62
	v_fmac_f32_e32 v0, 0x3f167918, v62
	s_delay_alu instid0(VALU_DEP_4) | instskip(SKIP_3) | instid1(VALU_DEP_4)
	v_add_f32_e32 v62, v60, v27
	v_fmamk_f32 v60, v29, 0x3f737871, v58
	v_fmac_f32_e32 v58, 0xbf737871, v29
	v_fmac_f32_e32 v63, 0x3e9e377a, v64
	v_dual_fmac_f32 v0, 0x3e9e377a, v64 :: v_dual_add_f32 v31, v62, v30
	v_sub_f32_e32 v62, v26, v27
	v_fmamk_f32 v64, v28, 0xbf737871, v1
	v_dual_sub_f32 v26, v27, v26 :: v_dual_sub_f32 v27, v30, v32
	v_fmac_f32_e32 v1, 0x3f737871, v28
	v_fmac_f32_e32 v60, 0x3f167918, v28
	v_add_f32_e32 v30, v62, v65
	v_fmac_f32_e32 v58, 0xbf167918, v28
	s_delay_alu instid0(VALU_DEP_4)
	v_dual_add_f32 v26, v26, v27 :: v_dual_fmac_f32 v1, 0xbf167918, v29
	v_fmac_f32_e32 v64, 0x3f167918, v29
	v_add_f32_e32 v62, v31, v32
	v_fmac_f32_e32 v60, 0x3e9e377a, v30
	v_fmac_f32_e32 v58, 0x3e9e377a, v30
	v_fmac_f32_e32 v1, 0x3e9e377a, v26
	v_fmac_f32_e32 v64, 0x3e9e377a, v26
	ds_store_b64 v255, v[12:13] offset:2520
	ds_store_b64 v255, v[16:17] offset:5040
	;; [unrolled: 1-line block ×4, first 2 shown]
	ds_store_2addr_b64 v255, v[4:5], v[37:38] offset1:63
	ds_store_2addr_b64 v20, v[35:36], v[43:44] offset0:122 offset1:185
	ds_store_2addr_b64 v22, v[39:40], v[47:48] offset0:181 offset1:244
	;; [unrolled: 1-line block ×5, first 2 shown]
	ds_store_b64 v255, v[10:11] offset:9072
	ds_store_b64 v255, v[49:50] offset:11592
	;; [unrolled: 1-line block ×4, first 2 shown]
	ds_store_2addr_b64 v24, v[51:52], v[59:60] offset0:120 offset1:183
	ds_store_b64 v255, v[63:64] offset:7056
	ds_store_b64 v255, v[0:1] offset:9576
	;; [unrolled: 1-line block ×3, first 2 shown]
	global_wb scope:SCOPE_SE
	s_wait_dscnt 0x0
	s_barrier_signal -1
	s_barrier_wait -1
	global_inv scope:SCOPE_SE
	ds_load_2addr_b64 v[0:3], v255 offset1:63
	v_mad_co_u64_u32 v[30:31], null, s6, v252, 0
	v_mad_co_u64_u32 v[32:33], null, s4, v246, 0
	s_wait_dscnt 0x0
	v_mul_f32_e32 v4, v215, v1
	v_mul_f32_e32 v5, v215, v0
	s_delay_alu instid0(VALU_DEP_2) | instskip(NEXT) | instid1(VALU_DEP_2)
	v_fmac_f32_e32 v4, v214, v0
	v_fma_f32 v5, v214, v1, -v5
	s_delay_alu instid0(VALU_DEP_2) | instskip(NEXT) | instid1(VALU_DEP_2)
	v_cvt_f64_f32_e32 v[0:1], v4
	v_cvt_f64_f32_e32 v[12:13], v5
	ds_load_2addr_b64 v[4:7], v22 offset0:13 offset1:76
	ds_load_2addr_b64 v[8:11], v23 offset0:26 offset1:89
	s_clause 0x3
	scratch_load_b64 v[39:40], off, off offset:128 th:TH_LOAD_LU
	scratch_load_b64 v[49:50], off, off offset:144 th:TH_LOAD_LU
	scratch_load_b64 v[46:47], off, off offset:120 th:TH_LOAD_LU
	scratch_load_b64 v[52:53], off, off offset:112 th:TH_LOAD_LU
	s_wait_dscnt 0x1
	v_mul_f32_e32 v14, v217, v5
	v_mul_f32_e32 v15, v217, v4
	s_wait_dscnt 0x0
	v_mul_f32_e32 v25, v219, v8
	v_mul_f32_e32 v24, v219, v9
	v_fmac_f32_e32 v14, v216, v4
	v_fma_f32 v15, v216, v5, -v15
	s_delay_alu instid0(VALU_DEP_3) | instskip(NEXT) | instid1(VALU_DEP_3)
	v_fmac_f32_e32 v24, v218, v8
	v_cvt_f64_f32_e32 v[4:5], v14
	v_fma_f32 v14, v218, v9, -v25
	s_delay_alu instid0(VALU_DEP_4) | instskip(NEXT) | instid1(VALU_DEP_4)
	v_cvt_f64_f32_e32 v[16:17], v15
	v_cvt_f64_f32_e32 v[8:9], v24
	ds_load_2addr_b64 v[24:27], v22 offset0:139 offset1:202
	v_cvt_f64_f32_e32 v[28:29], v14
	s_wait_alu 0xfffe
	v_mul_f64_e32 v[0:1], s[2:3], v[0:1]
	v_mul_f64_e32 v[12:13], s[2:3], v[12:13]
	v_mov_b32_e32 v14, v31
	s_delay_alu instid0(VALU_DEP_1) | instskip(NEXT) | instid1(VALU_DEP_1)
	v_mad_co_u64_u32 v[14:15], null, s7, v252, v[14:15]
	v_mov_b32_e32 v31, v14
	v_mul_f64_e32 v[4:5], s[2:3], v[4:5]
	v_mul_f64_e32 v[16:17], s[2:3], v[16:17]
	;; [unrolled: 1-line block ×4, first 2 shown]
	v_cvt_f32_f64_e32 v34, v[0:1]
	v_cvt_f32_f64_e32 v35, v[12:13]
	ds_load_2addr_b64 v[12:15], v255 offset0:126 offset1:189
	v_mov_b32_e32 v0, v33
	v_cvt_f32_f64_e32 v8, v[8:9]
	v_cvt_f32_f64_e32 v9, v[28:29]
	s_wait_loadcnt 0x3
	v_mul_f32_e32 v1, v40, v3
	s_wait_loadcnt_dscnt 0x100
	v_mul_f32_e32 v43, v47, v13
	s_delay_alu instid0(VALU_DEP_2)
	v_mad_co_u64_u32 v[36:37], null, s5, v246, v[0:1]
	v_mul_f32_e32 v0, v40, v2
	scratch_load_b64 v[40:41], off, off offset:152 th:TH_LOAD_LU ; 8-byte Folded Reload
	v_fmac_f32_e32 v43, v46, v12
	v_mul_f32_e32 v12, v47, v12
	scratch_load_b64 v[47:48], off, off offset:136 th:TH_LOAD_LU ; 8-byte Folded Reload
	v_fmac_f32_e32 v1, v39, v2
	v_fma_f32 v22, v39, v3, -v0
	v_cvt_f64_f32_e32 v[43:44], v43
	v_fma_f32 v12, v46, v13, -v12
	s_delay_alu instid0(VALU_DEP_4) | instskip(SKIP_3) | instid1(VALU_DEP_2)
	v_cvt_f64_f32_e32 v[37:38], v1
	ds_load_2addr_b64 v[0:3], v23 offset0:152 offset1:215
	v_cvt_f64_f32_e32 v[22:23], v22
	v_cvt_f64_f32_e32 v[12:13], v12
	v_mul_f64_e32 v[22:23], s[2:3], v[22:23]
	s_delay_alu instid0(VALU_DEP_2)
	v_mul_f64_e32 v[12:13], s[2:3], v[12:13]
	s_wait_loadcnt 0x1
	v_mul_f32_e32 v33, v41, v7
	v_mul_f32_e32 v39, v41, v6
	;; [unrolled: 1-line block ×3, first 2 shown]
	s_wait_loadcnt 0x0
	v_mul_f32_e32 v45, v48, v24
	v_fmac_f32_e32 v33, v40, v6
	v_fma_f32 v39, v40, v7, -v39
	v_fmac_f32_e32 v41, v253, v10
	s_delay_alu instid0(VALU_DEP_4)
	v_fma_f32 v45, v47, v25, -v45
	v_mul_f32_e32 v10, v254, v10
	v_cvt_f64_f32_e32 v[6:7], v33
	v_cvt_f64_f32_e32 v[39:40], v39
	;; [unrolled: 1-line block ×4, first 2 shown]
	s_wait_dscnt 0x0
	v_dual_mul_f32 v33, v48, v25 :: v_dual_mul_f32 v48, v50, v0
	v_fma_f32 v10, v253, v11, -v10
	s_delay_alu instid0(VALU_DEP_2) | instskip(SKIP_1) | instid1(VALU_DEP_4)
	v_fmac_f32_e32 v33, v47, v24
	v_mul_f32_e32 v47, v50, v1
	v_fma_f32 v48, v49, v1, -v48
	s_delay_alu instid0(VALU_DEP_4) | instskip(NEXT) | instid1(VALU_DEP_4)
	v_cvt_f64_f32_e32 v[10:11], v10
	v_cvt_f64_f32_e32 v[24:25], v33
	s_delay_alu instid0(VALU_DEP_4)
	v_fmac_f32_e32 v47, v49, v0
	v_mov_b32_e32 v33, v36
	v_lshlrev_b64_e32 v[0:1], 3, v[30:31]
	scratch_load_b64 v[49:50], off, off offset:104 th:TH_LOAD_LU ; 8-byte Folded Reload
	v_cvt_f64_f32_e32 v[30:31], v47
	v_lshlrev_b64_e32 v[32:33], 3, v[32:33]
	v_cvt_f64_f32_e32 v[47:48], v48
	v_add_co_u32 v0, s0, s8, v0
	s_wait_alu 0xf1ff
	v_add_co_ci_u32_e64 v1, s0, s9, v1, s0
	s_delay_alu instid0(VALU_DEP_2) | instskip(SKIP_1) | instid1(VALU_DEP_2)
	v_add_co_u32 v0, s0, v0, v32
	s_wait_alu 0xf1ff
	v_add_co_ci_u32_e64 v1, s0, v1, v33, s0
	v_cvt_f32_f64_e32 v33, v[16:17]
	v_mul_f64_e32 v[16:17], s[2:3], v[37:38]
	v_cvt_f32_f64_e32 v32, v[4:5]
	global_store_b64 v[0:1], v[34:35], off
	s_mul_u64 s[0:1], s[4:5], 0x20d
	v_mul_f64_e32 v[28:29], s[2:3], v[6:7]
	v_mul_f64_e32 v[34:35], s[2:3], v[39:40]
	;; [unrolled: 1-line block ×4, first 2 shown]
	scratch_load_b64 v[45:46], off, off offset:96 th:TH_LOAD_LU ; 8-byte Folded Reload
	ds_load_2addr_b64 v[4:7], v21 offset0:124 offset1:187
	v_mul_f64_e32 v[38:39], s[2:3], v[43:44]
	s_wait_alu 0xfffe
	s_lshl_b64 s[6:7], s[0:1], 3
	s_wait_alu 0xfffe
	v_add_co_u32 v0, s0, v0, s6
	s_wait_alu 0xf1ff
	v_add_co_ci_u32_e64 v1, s0, s7, v1, s0
	v_mul_f64_e32 v[10:11], s[2:3], v[10:11]
	v_mul_f64_e32 v[24:25], s[2:3], v[24:25]
	;; [unrolled: 1-line block ×4, first 2 shown]
	v_mul_f32_e32 v48, v53, v3
	s_wait_dscnt 0x0
	s_delay_alu instid0(VALU_DEP_1)
	v_dual_mul_f32 v51, v213, v4 :: v_dual_fmac_f32 v48, v52, v2
	v_mul_f32_e32 v2, v53, v2
	v_cvt_f32_f64_e32 v16, v[16:17]
	v_cvt_f32_f64_e32 v17, v[22:23]
	global_store_b64 v[0:1], v[32:33], off
	v_cvt_f32_f64_e32 v33, v[12:13]
	v_fma_f32 v2, v52, v3, -v2
	v_cvt_f32_f64_e32 v13, v[40:41]
	s_delay_alu instid0(VALU_DEP_2)
	v_cvt_f64_f32_e32 v[2:3], v2
	v_cvt_f32_f64_e32 v32, v[38:39]
	v_cvt_f32_f64_e32 v12, v[24:25]
	;; [unrolled: 1-line block ×4, first 2 shown]
	s_wait_loadcnt 0x0
	v_mul_f32_e32 v21, v46, v15
	v_mul_f32_e32 v44, v46, v14
	s_delay_alu instid0(VALU_DEP_2) | instskip(NEXT) | instid1(VALU_DEP_2)
	v_dual_mul_f32 v46, v50, v27 :: v_dual_fmac_f32 v21, v45, v14
	v_fma_f32 v44, v45, v15, -v44
	s_delay_alu instid0(VALU_DEP_2)
	v_fmac_f32_e32 v46, v49, v26
	v_mul_f32_e32 v26, v50, v26
	v_mul_f32_e32 v50, v213, v5
	v_cvt_f64_f32_e32 v[14:15], v21
	v_cvt_f64_f32_e32 v[44:45], v44
	;; [unrolled: 1-line block ×3, first 2 shown]
	v_fma_f32 v21, v49, v27, -v26
	v_fmac_f32_e32 v50, v212, v4
	v_cvt_f64_f32_e32 v[48:49], v48
	s_delay_alu instid0(VALU_DEP_3) | instskip(SKIP_1) | instid1(VALU_DEP_4)
	v_cvt_f64_f32_e32 v[26:27], v21
	v_fma_f32 v21, v212, v5, -v51
	v_cvt_f64_f32_e32 v[4:5], v50
	s_delay_alu instid0(VALU_DEP_2)
	v_cvt_f64_f32_e32 v[50:51], v21
	v_add_co_u32 v21, s0, v0, s6
	s_wait_alu 0xf1ff
	v_add_co_ci_u32_e64 v22, s0, s7, v1, s0
	s_movk_i32 s0, 0xfc25
	s_mov_b32 s1, -1
	global_store_b64 v[21:22], v[8:9], off
	v_cvt_f32_f64_e32 v8, v[28:29]
	v_cvt_f32_f64_e32 v9, v[34:35]
	;; [unrolled: 1-line block ×4, first 2 shown]
	s_wait_alu 0xfffe
	s_mul_u64 s[0:1], s[4:5], s[0:1]
	v_mul_f64_e32 v[36:37], s[2:3], v[2:3]
	s_wait_alu 0xfffe
	s_lshl_b64 s[4:5], s[0:1], 3
	s_wait_alu 0xfffe
	v_add_co_u32 v0, s0, v21, s4
	s_wait_alu 0xf1ff
	v_add_co_ci_u32_e64 v1, s0, s5, v22, s0
	s_delay_alu instid0(VALU_DEP_2) | instskip(SKIP_2) | instid1(VALU_DEP_3)
	v_add_co_u32 v10, s0, v0, s6
	v_mul_f64_e32 v[14:15], s[2:3], v[14:15]
	s_wait_alu 0xf1ff
	v_add_co_ci_u32_e64 v11, s0, s7, v1, s0
	s_delay_alu instid0(VALU_DEP_3)
	v_add_co_u32 v40, s0, v10, s6
	global_store_b64 v[0:1], v[16:17], off
	s_wait_alu 0xf1ff
	v_add_co_ci_u32_e64 v41, s0, s7, v11, s0
	v_add_co_u32 v16, s0, v40, s4
	v_mul_f64_e32 v[30:31], s[2:3], v[44:45]
	s_wait_alu 0xf1ff
	s_delay_alu instid0(VALU_DEP_3) | instskip(NEXT) | instid1(VALU_DEP_3)
	v_add_co_ci_u32_e64 v17, s0, s5, v41, s0
	v_add_co_u32 v42, s0, v16, s6
	ds_load_2addr_b64 v[0:3], v18 offset0:9 offset1:72
	s_wait_alu 0xf1ff
	v_add_co_ci_u32_e64 v43, s0, s7, v17, s0
	v_add_co_u32 v44, s0, v42, s6
	v_mul_f64_e32 v[25:26], s[2:3], v[26:27]
	s_wait_alu 0xf1ff
	s_delay_alu instid0(VALU_DEP_3) | instskip(NEXT) | instid1(VALU_DEP_3)
	v_add_co_ci_u32_e64 v45, s0, s7, v43, s0
	v_add_co_u32 v27, s0, v44, s4
	global_store_b64 v[10:11], v[8:9], off
	global_store_b64 v[40:41], v[28:29], off
	ds_load_2addr_b64 v[8:11], v19 offset0:22 offset1:85
	global_store_b64 v[16:17], v[32:33], off
	global_store_b64 v[42:43], v[12:13], off
	;; [unrolled: 1-line block ×3, first 2 shown]
	s_wait_alu 0xf1ff
	v_add_co_ci_u32_e64 v28, s0, s5, v45, s0
	scratch_load_b64 v[44:45], off, off offset:8 th:TH_LOAD_LU ; 8-byte Folded Reload
	v_mul_f64_e32 v[21:22], s[2:3], v[46:47]
	v_mul_f64_e32 v[34:35], s[2:3], v[48:49]
	s_clause 0x1
	scratch_load_b64 v[48:49], off, off offset:16 th:TH_LOAD_LU
	scratch_load_b64 v[54:55], off, off offset:24 th:TH_LOAD_LU
	v_mul_f64_e32 v[4:5], s[2:3], v[4:5]
	v_mul_f64_e32 v[38:39], s[2:3], v[50:51]
	v_cvt_f32_f64_e32 v23, v[14:15]
	s_clause 0x1
	scratch_load_b64 v[14:15], off, off offset:64 th:TH_LOAD_LU
	scratch_load_b64 v[50:51], off, off offset:32 th:TH_LOAD_LU
	v_cvt_f32_f64_e32 v24, v[30:31]
	v_cvt_f32_f64_e32 v21, v[21:22]
	;; [unrolled: 1-line block ×4, first 2 shown]
	scratch_load_b64 v[33:34], off, off offset:80 th:TH_LOAD_LU ; 8-byte Folded Reload
	v_cvt_f32_f64_e32 v26, v[36:37]
	scratch_load_b64 v[35:36], off, off offset:88 th:TH_LOAD_LU ; 8-byte Folded Reload
	v_cvt_f32_f64_e32 v29, v[4:5]
	v_cvt_f32_f64_e32 v30, v[38:39]
	s_wait_loadcnt_dscnt 0x301
	v_mul_f32_e32 v12, v15, v1
	v_mul_f32_e32 v13, v15, v0
	s_delay_alu instid0(VALU_DEP_2) | instskip(NEXT) | instid1(VALU_DEP_2)
	v_fmac_f32_e32 v12, v14, v0
	v_fma_f32 v4, v14, v1, -v13
	s_delay_alu instid0(VALU_DEP_2) | instskip(SKIP_3) | instid1(VALU_DEP_2)
	v_cvt_f64_f32_e32 v[0:1], v12
	ds_load_2addr_b64 v[12:15], v20 offset0:122 offset1:185
	v_mul_f32_e32 v20, v45, v3
	v_cvt_f64_f32_e32 v[31:32], v4
	v_fmac_f32_e32 v20, v44, v2
	v_mul_f32_e32 v2, v45, v2
	scratch_load_b64 v[45:46], off, off offset:40 th:TH_LOAD_LU ; 8-byte Folded Reload
	v_cvt_f64_f32_e32 v[39:40], v20
	v_fma_f32 v2, v44, v3, -v2
	s_delay_alu instid0(VALU_DEP_1) | instskip(SKIP_4) | instid1(VALU_DEP_2)
	v_cvt_f64_f32_e32 v[2:3], v2
	s_wait_loadcnt_dscnt 0x201
	v_mul_f32_e32 v5, v34, v9
	s_wait_loadcnt 0x1
	v_dual_mul_f32 v16, v34, v8 :: v_dual_mul_f32 v17, v36, v7
	v_fmac_f32_e32 v5, v33, v8
	s_delay_alu instid0(VALU_DEP_2) | instskip(SKIP_1) | instid1(VALU_DEP_4)
	v_fma_f32 v4, v33, v9, -v16
	v_mul_f32_e32 v16, v36, v6
	v_fmac_f32_e32 v17, v35, v6
	s_delay_alu instid0(VALU_DEP_4) | instskip(NEXT) | instid1(VALU_DEP_4)
	v_cvt_f64_f32_e32 v[8:9], v5
	v_cvt_f64_f32_e32 v[33:34], v4
	s_delay_alu instid0(VALU_DEP_4)
	v_fma_f32 v37, v35, v7, -v16
	ds_load_2addr_b64 v[4:7], v18 offset0:135 offset1:198
	v_cvt_f64_f32_e32 v[35:36], v17
	ds_load_2addr_b64 v[16:19], v19 offset0:148 offset1:211
	v_mul_f64_e32 v[0:1], s[2:3], v[0:1]
	v_cvt_f64_f32_e32 v[37:38], v37
	v_mul_f64_e32 v[31:32], s[2:3], v[31:32]
	v_mul_f64_e32 v[39:40], s[2:3], v[39:40]
	;; [unrolled: 1-line block ×6, first 2 shown]
	v_cvt_f32_f64_e32 v0, v[0:1]
	v_mul_f64_e32 v[37:38], s[2:3], v[37:38]
	v_cvt_f32_f64_e32 v1, v[31:32]
	v_cvt_f32_f64_e32 v8, v[8:9]
	;; [unrolled: 1-line block ×7, first 2 shown]
	s_wait_loadcnt 0x0
	v_mul_f32_e32 v20, v46, v11
	v_mul_f32_e32 v41, v46, v10
	scratch_load_b64 v[46:47], off, off offset:48 th:TH_LOAD_LU ; 8-byte Folded Reload
	v_fmac_f32_e32 v20, v45, v10
	v_fma_f32 v41, v45, v11, -v41
	s_wait_dscnt 0x1
	v_mul_f32_e32 v45, v49, v4
	s_delay_alu instid0(VALU_DEP_3) | instskip(SKIP_1) | instid1(VALU_DEP_3)
	v_cvt_f64_f32_e32 v[10:11], v20
	v_dual_mul_f32 v20, v49, v5 :: v_dual_mul_f32 v49, v55, v15
	v_fma_f32 v45, v48, v5, -v45
	s_delay_alu instid0(VALU_DEP_2)
	v_dual_fmac_f32 v20, v48, v4 :: v_dual_fmac_f32 v49, v54, v14
	v_mul_f32_e32 v14, v55, v14
	scratch_load_b64 v[55:56], off, off offset:56 th:TH_LOAD_LU ; 8-byte Folded Reload
	v_cvt_f64_f32_e32 v[4:5], v20
	v_fma_f32 v14, v54, v15, -v14
	v_mul_f64_e32 v[10:11], s[2:3], v[10:11]
	s_delay_alu instid0(VALU_DEP_3) | instskip(NEXT) | instid1(VALU_DEP_2)
	v_mul_f64_e32 v[4:5], s[2:3], v[4:5]
	v_cvt_f32_f64_e32 v2, v[10:11]
	s_delay_alu instid0(VALU_DEP_2)
	v_cvt_f32_f64_e32 v4, v[4:5]
	s_wait_loadcnt 0x1
	v_mul_f32_e32 v42, v47, v13
	v_mul_f32_e32 v43, v47, v12
	s_wait_dscnt 0x0
	v_mul_f32_e32 v47, v51, v16
	s_delay_alu instid0(VALU_DEP_3) | instskip(NEXT) | instid1(VALU_DEP_3)
	v_fmac_f32_e32 v42, v46, v12
	v_fma_f32 v43, v46, v13, -v43
	v_mul_f32_e32 v46, v51, v17
	v_cvt_f64_f32_e32 v[12:13], v41
	v_fma_f32 v47, v50, v17, -v47
	v_cvt_f64_f32_e32 v[41:42], v42
	v_cvt_f64_f32_e32 v[43:44], v43
	v_fmac_f32_e32 v46, v50, v16
	v_cvt_f64_f32_e32 v[16:17], v45
	v_cvt_f64_f32_e32 v[47:48], v47
	;; [unrolled: 1-line block ×3, first 2 shown]
	s_wait_loadcnt 0x0
	v_mul_f32_e32 v20, v56, v7
	v_mul_f32_e32 v51, v56, v6
	scratch_load_b64 v[56:57], off, off offset:72 th:TH_LOAD_LU ; 8-byte Folded Reload
	v_cvt_f64_f32_e32 v[45:46], v46
	v_fmac_f32_e32 v20, v55, v6
	v_fma_f32 v51, v55, v7, -v51
	v_cvt_f64_f32_e32 v[6:7], v14
	v_add_co_u32 v55, s0, v27, s6
	s_delay_alu instid0(VALU_DEP_4) | instskip(SKIP_3) | instid1(VALU_DEP_4)
	v_cvt_f64_f32_e32 v[14:15], v20
	v_mul_f64_e32 v[12:13], s[2:3], v[12:13]
	v_mul_f64_e32 v[16:17], s[2:3], v[16:17]
	;; [unrolled: 1-line block ×4, first 2 shown]
	s_delay_alu instid0(VALU_DEP_4) | instskip(NEXT) | instid1(VALU_DEP_4)
	v_cvt_f32_f64_e32 v3, v[12:13]
	v_cvt_f32_f64_e32 v5, v[16:17]
	s_wait_loadcnt 0x0
	v_mul_f32_e32 v52, v57, v19
	v_mul_f32_e32 v53, v57, v18
	s_delay_alu instid0(VALU_DEP_2) | instskip(NEXT) | instid1(VALU_DEP_2)
	v_fmac_f32_e32 v52, v56, v18
	v_fma_f32 v53, v56, v19, -v53
	v_cvt_f64_f32_e32 v[18:19], v51
	s_wait_alu 0xf1ff
	v_add_co_ci_u32_e64 v56, s0, s7, v28, s0
	v_cvt_f64_f32_e32 v[51:52], v52
	v_cvt_f64_f32_e32 v[53:54], v53
	v_add_co_u32 v57, s0, v55, s6
	s_wait_alu 0xf1ff
	v_add_co_ci_u32_e64 v58, s0, s7, v56, s0
	s_delay_alu instid0(VALU_DEP_2) | instskip(SKIP_1) | instid1(VALU_DEP_2)
	v_add_co_u32 v59, s0, v57, s4
	s_wait_alu 0xf1ff
	v_add_co_ci_u32_e64 v60, s0, s5, v58, s0
	global_store_b64 v[27:28], v[23:24], off
	global_store_b64 v[55:56], v[21:22], off
	;; [unrolled: 1-line block ×4, first 2 shown]
	v_mul_f64_e32 v[20:21], s[2:3], v[41:42]
	v_mul_f64_e32 v[22:23], s[2:3], v[43:44]
	;; [unrolled: 1-line block ×5, first 2 shown]
	v_add_co_u32 v30, s0, v59, s6
	s_wait_alu 0xf1ff
	v_add_co_ci_u32_e64 v31, s0, s7, v60, s0
	s_delay_alu instid0(VALU_DEP_2) | instskip(SKIP_1) | instid1(VALU_DEP_2)
	v_add_co_u32 v32, s0, v30, s6
	s_wait_alu 0xf1ff
	v_add_co_ci_u32_e64 v33, s0, s7, v31, s0
	global_store_b64 v[30:31], v[0:1], off
	v_add_co_u32 v36, s0, v32, s4
	s_wait_alu 0xf1ff
	v_add_co_ci_u32_e64 v37, s0, s5, v33, s0
	global_store_b64 v[32:33], v[8:9], off
	v_add_co_u32 v10, s0, v36, s6
	s_wait_alu 0xf1ff
	v_add_co_ci_u32_e64 v11, s0, s7, v37, s0
	v_mul_f64_e32 v[18:19], s[2:3], v[18:19]
	global_store_b64 v[36:37], v[34:35], off
	v_mul_f64_e32 v[41:42], s[2:3], v[51:52]
	v_mul_f64_e32 v[43:44], s[2:3], v[53:54]
	global_store_b64 v[10:11], v[38:39], off
	v_cvt_f32_f64_e32 v12, v[20:21]
	v_cvt_f32_f64_e32 v13, v[22:23]
	;; [unrolled: 1-line block ×8, first 2 shown]
	v_add_co_u32 v18, s0, v10, s6
	s_wait_alu 0xf1ff
	v_add_co_ci_u32_e64 v19, s0, s7, v11, s0
	v_cvt_f32_f64_e32 v14, v[41:42]
	v_cvt_f32_f64_e32 v15, v[43:44]
	v_add_co_u32 v0, s0, v18, s4
	s_wait_alu 0xf1ff
	v_add_co_ci_u32_e64 v1, s0, s5, v19, s0
	global_store_b64 v[18:19], v[2:3], off
	v_add_co_u32 v8, s0, v0, s6
	s_wait_alu 0xf1ff
	v_add_co_ci_u32_e64 v9, s0, s7, v1, s0
	global_store_b64 v[0:1], v[12:13], off
	v_add_co_u32 v22, s0, v8, s6
	s_wait_alu 0xf1ff
	v_add_co_ci_u32_e64 v23, s0, s7, v9, s0
	s_delay_alu instid0(VALU_DEP_2) | instskip(SKIP_1) | instid1(VALU_DEP_2)
	v_add_co_u32 v10, s0, v22, s4
	s_wait_alu 0xf1ff
	v_add_co_ci_u32_e64 v11, s0, s5, v23, s0
	s_delay_alu instid0(VALU_DEP_2) | instskip(SKIP_1) | instid1(VALU_DEP_2)
	;; [unrolled: 4-line block ×3, first 2 shown]
	v_add_co_u32 v0, s0, v2, s6
	s_wait_alu 0xf1ff
	v_add_co_ci_u32_e64 v1, s0, s7, v3, s0
	global_store_b64 v[8:9], v[4:5], off
	global_store_b64 v[22:23], v[16:17], off
	;; [unrolled: 1-line block ×5, first 2 shown]
	s_and_b32 exec_lo, exec_lo, vcc_lo
	s_cbranch_execz .LBB0_31
; %bb.30:
	scratch_load_b64 v[11:12], off, off th:TH_LOAD_LU ; 8-byte Folded Reload
	v_add_co_u32 v0, vcc_lo, v0, s4
	s_wait_alu 0xfffd
	v_add_co_ci_u32_e32 v1, vcc_lo, s5, v1, vcc_lo
	s_wait_loadcnt 0x0
	global_load_b64 v[2:3], v[11:12], off offset:4032
	ds_load_b64 v[4:5], v255 offset:4032
	ds_load_b64 v[6:7], v255 offset:8232
	;; [unrolled: 1-line block ×3, first 2 shown]
	s_wait_loadcnt_dscnt 0x2
	v_mul_f32_e32 v10, v5, v3
	v_mul_f32_e32 v3, v4, v3
	s_delay_alu instid0(VALU_DEP_2) | instskip(NEXT) | instid1(VALU_DEP_2)
	v_fmac_f32_e32 v10, v4, v2
	v_fma_f32 v4, v2, v5, -v3
	s_delay_alu instid0(VALU_DEP_2) | instskip(NEXT) | instid1(VALU_DEP_2)
	v_cvt_f64_f32_e32 v[2:3], v10
	v_cvt_f64_f32_e32 v[4:5], v4
	s_delay_alu instid0(VALU_DEP_2) | instskip(NEXT) | instid1(VALU_DEP_2)
	v_mul_f64_e32 v[2:3], s[2:3], v[2:3]
	v_mul_f64_e32 v[4:5], s[2:3], v[4:5]
	s_delay_alu instid0(VALU_DEP_2) | instskip(NEXT) | instid1(VALU_DEP_2)
	v_cvt_f32_f64_e32 v2, v[2:3]
	v_cvt_f32_f64_e32 v3, v[4:5]
	global_store_b64 v[0:1], v[2:3], off
	global_load_b64 v[2:3], v[11:12], off offset:8232
	v_add_co_u32 v0, vcc_lo, v0, s6
	s_wait_alu 0xfffd
	v_add_co_ci_u32_e32 v1, vcc_lo, s7, v1, vcc_lo
	s_wait_loadcnt_dscnt 0x1
	v_mul_f32_e32 v4, v7, v3
	v_mul_f32_e32 v3, v6, v3
	s_delay_alu instid0(VALU_DEP_2) | instskip(NEXT) | instid1(VALU_DEP_2)
	v_fmac_f32_e32 v4, v6, v2
	v_fma_f32 v5, v2, v7, -v3
	s_delay_alu instid0(VALU_DEP_2) | instskip(NEXT) | instid1(VALU_DEP_2)
	v_cvt_f64_f32_e32 v[2:3], v4
	v_cvt_f64_f32_e32 v[4:5], v5
	s_delay_alu instid0(VALU_DEP_2) | instskip(NEXT) | instid1(VALU_DEP_2)
	v_mul_f64_e32 v[2:3], s[2:3], v[2:3]
	v_mul_f64_e32 v[4:5], s[2:3], v[4:5]
	s_delay_alu instid0(VALU_DEP_2) | instskip(NEXT) | instid1(VALU_DEP_2)
	v_cvt_f32_f64_e32 v2, v[2:3]
	v_cvt_f32_f64_e32 v3, v[4:5]
	global_store_b64 v[0:1], v[2:3], off
	global_load_b64 v[2:3], v[11:12], off offset:12432
	v_add_co_u32 v0, vcc_lo, v0, s6
	s_wait_alu 0xfffd
	v_add_co_ci_u32_e32 v1, vcc_lo, s7, v1, vcc_lo
	s_wait_loadcnt_dscnt 0x0
	v_mul_f32_e32 v4, v9, v3
	v_mul_f32_e32 v3, v8, v3
	s_delay_alu instid0(VALU_DEP_2) | instskip(NEXT) | instid1(VALU_DEP_2)
	v_fmac_f32_e32 v4, v8, v2
	v_fma_f32 v5, v2, v9, -v3
	s_delay_alu instid0(VALU_DEP_2) | instskip(NEXT) | instid1(VALU_DEP_2)
	v_cvt_f64_f32_e32 v[2:3], v4
	v_cvt_f64_f32_e32 v[4:5], v5
	s_delay_alu instid0(VALU_DEP_2) | instskip(NEXT) | instid1(VALU_DEP_2)
	v_mul_f64_e32 v[2:3], s[2:3], v[2:3]
	v_mul_f64_e32 v[4:5], s[2:3], v[4:5]
	s_delay_alu instid0(VALU_DEP_2) | instskip(NEXT) | instid1(VALU_DEP_2)
	v_cvt_f32_f64_e32 v2, v[2:3]
	v_cvt_f32_f64_e32 v3, v[4:5]
	global_store_b64 v[0:1], v[2:3], off
.LBB0_31:
	s_nop 0
	s_sendmsg sendmsg(MSG_DEALLOC_VGPRS)
	s_endpgm
	.section	.rodata,"a",@progbits
	.p2align	6, 0x0
	.amdhsa_kernel bluestein_single_back_len1575_dim1_sp_op_CI_CI
		.amdhsa_group_segment_fixed_size 12600
		.amdhsa_private_segment_fixed_size 260
		.amdhsa_kernarg_size 104
		.amdhsa_user_sgpr_count 2
		.amdhsa_user_sgpr_dispatch_ptr 0
		.amdhsa_user_sgpr_queue_ptr 0
		.amdhsa_user_sgpr_kernarg_segment_ptr 1
		.amdhsa_user_sgpr_dispatch_id 0
		.amdhsa_user_sgpr_private_segment_size 0
		.amdhsa_wavefront_size32 1
		.amdhsa_uses_dynamic_stack 0
		.amdhsa_enable_private_segment 1
		.amdhsa_system_sgpr_workgroup_id_x 1
		.amdhsa_system_sgpr_workgroup_id_y 0
		.amdhsa_system_sgpr_workgroup_id_z 0
		.amdhsa_system_sgpr_workgroup_info 0
		.amdhsa_system_vgpr_workitem_id 0
		.amdhsa_next_free_vgpr 256
		.amdhsa_next_free_sgpr 18
		.amdhsa_reserve_vcc 1
		.amdhsa_float_round_mode_32 0
		.amdhsa_float_round_mode_16_64 0
		.amdhsa_float_denorm_mode_32 3
		.amdhsa_float_denorm_mode_16_64 3
		.amdhsa_fp16_overflow 0
		.amdhsa_workgroup_processor_mode 1
		.amdhsa_memory_ordered 1
		.amdhsa_forward_progress 0
		.amdhsa_round_robin_scheduling 0
		.amdhsa_exception_fp_ieee_invalid_op 0
		.amdhsa_exception_fp_denorm_src 0
		.amdhsa_exception_fp_ieee_div_zero 0
		.amdhsa_exception_fp_ieee_overflow 0
		.amdhsa_exception_fp_ieee_underflow 0
		.amdhsa_exception_fp_ieee_inexact 0
		.amdhsa_exception_int_div_zero 0
	.end_amdhsa_kernel
	.text
.Lfunc_end0:
	.size	bluestein_single_back_len1575_dim1_sp_op_CI_CI, .Lfunc_end0-bluestein_single_back_len1575_dim1_sp_op_CI_CI
                                        ; -- End function
	.section	.AMDGPU.csdata,"",@progbits
; Kernel info:
; codeLenInByte = 32024
; NumSgprs: 20
; NumVgprs: 256
; ScratchSize: 260
; MemoryBound: 0
; FloatMode: 240
; IeeeMode: 1
; LDSByteSize: 12600 bytes/workgroup (compile time only)
; SGPRBlocks: 2
; VGPRBlocks: 31
; NumSGPRsForWavesPerEU: 20
; NumVGPRsForWavesPerEU: 256
; Occupancy: 5
; WaveLimiterHint : 1
; COMPUTE_PGM_RSRC2:SCRATCH_EN: 1
; COMPUTE_PGM_RSRC2:USER_SGPR: 2
; COMPUTE_PGM_RSRC2:TRAP_HANDLER: 0
; COMPUTE_PGM_RSRC2:TGID_X_EN: 1
; COMPUTE_PGM_RSRC2:TGID_Y_EN: 0
; COMPUTE_PGM_RSRC2:TGID_Z_EN: 0
; COMPUTE_PGM_RSRC2:TIDIG_COMP_CNT: 0
	.text
	.p2alignl 7, 3214868480
	.fill 96, 4, 3214868480
	.type	__hip_cuid_4b916f82941bbd87,@object ; @__hip_cuid_4b916f82941bbd87
	.section	.bss,"aw",@nobits
	.globl	__hip_cuid_4b916f82941bbd87
__hip_cuid_4b916f82941bbd87:
	.byte	0                               ; 0x0
	.size	__hip_cuid_4b916f82941bbd87, 1

	.ident	"AMD clang version 19.0.0git (https://github.com/RadeonOpenCompute/llvm-project roc-6.4.0 25133 c7fe45cf4b819c5991fe208aaa96edf142730f1d)"
	.section	".note.GNU-stack","",@progbits
	.addrsig
	.addrsig_sym __hip_cuid_4b916f82941bbd87
	.amdgpu_metadata
---
amdhsa.kernels:
  - .args:
      - .actual_access:  read_only
        .address_space:  global
        .offset:         0
        .size:           8
        .value_kind:     global_buffer
      - .actual_access:  read_only
        .address_space:  global
        .offset:         8
        .size:           8
        .value_kind:     global_buffer
      - .actual_access:  read_only
        .address_space:  global
        .offset:         16
        .size:           8
        .value_kind:     global_buffer
      - .actual_access:  read_only
        .address_space:  global
        .offset:         24
        .size:           8
        .value_kind:     global_buffer
      - .actual_access:  read_only
        .address_space:  global
        .offset:         32
        .size:           8
        .value_kind:     global_buffer
      - .offset:         40
        .size:           8
        .value_kind:     by_value
      - .address_space:  global
        .offset:         48
        .size:           8
        .value_kind:     global_buffer
      - .address_space:  global
        .offset:         56
        .size:           8
        .value_kind:     global_buffer
      - .address_space:  global
        .offset:         64
        .size:           8
        .value_kind:     global_buffer
      - .address_space:  global
        .offset:         72
        .size:           8
        .value_kind:     global_buffer
      - .offset:         80
        .size:           4
        .value_kind:     by_value
      - .address_space:  global
        .offset:         88
        .size:           8
        .value_kind:     global_buffer
      - .address_space:  global
        .offset:         96
        .size:           8
        .value_kind:     global_buffer
    .group_segment_fixed_size: 12600
    .kernarg_segment_align: 8
    .kernarg_segment_size: 104
    .language:       OpenCL C
    .language_version:
      - 2
      - 0
    .max_flat_workgroup_size: 63
    .name:           bluestein_single_back_len1575_dim1_sp_op_CI_CI
    .private_segment_fixed_size: 260
    .sgpr_count:     20
    .sgpr_spill_count: 0
    .symbol:         bluestein_single_back_len1575_dim1_sp_op_CI_CI.kd
    .uniform_work_group_size: 1
    .uses_dynamic_stack: false
    .vgpr_count:     256
    .vgpr_spill_count: 64
    .wavefront_size: 32
    .workgroup_processor_mode: 1
amdhsa.target:   amdgcn-amd-amdhsa--gfx1201
amdhsa.version:
  - 1
  - 2
...

	.end_amdgpu_metadata
